;; amdgpu-corpus repo=ROCm/rocFFT kind=compiled arch=gfx906 opt=O3
	.text
	.amdgcn_target "amdgcn-amd-amdhsa--gfx906"
	.amdhsa_code_object_version 6
	.protected	fft_rtc_back_len1008_factors_2_2_2_2_3_3_7_wgs_56_tpt_56_halfLds_half_op_CI_CI_sbrr_dirReg ; -- Begin function fft_rtc_back_len1008_factors_2_2_2_2_3_3_7_wgs_56_tpt_56_halfLds_half_op_CI_CI_sbrr_dirReg
	.globl	fft_rtc_back_len1008_factors_2_2_2_2_3_3_7_wgs_56_tpt_56_halfLds_half_op_CI_CI_sbrr_dirReg
	.p2align	8
	.type	fft_rtc_back_len1008_factors_2_2_2_2_3_3_7_wgs_56_tpt_56_halfLds_half_op_CI_CI_sbrr_dirReg,@function
fft_rtc_back_len1008_factors_2_2_2_2_3_3_7_wgs_56_tpt_56_halfLds_half_op_CI_CI_sbrr_dirReg: ; @fft_rtc_back_len1008_factors_2_2_2_2_3_3_7_wgs_56_tpt_56_halfLds_half_op_CI_CI_sbrr_dirReg
; %bb.0:
	s_load_dwordx4 s[16:19], s[4:5], 0x18
	s_load_dwordx4 s[8:11], s[4:5], 0x0
	;; [unrolled: 1-line block ×3, first 2 shown]
	v_mul_u32_u24_e32 v1, 0x493, v0
	v_mov_b32_e32 v7, 0
	s_waitcnt lgkmcnt(0)
	s_load_dwordx2 s[20:21], s[16:17], 0x0
	s_load_dwordx2 s[2:3], s[18:19], 0x0
	v_cmp_lt_u64_e64 s[0:1], s[10:11], 2
	v_mov_b32_e32 v5, 0
	v_add_u32_sdwa v9, s6, v1 dst_sel:DWORD dst_unused:UNUSED_PAD src0_sel:DWORD src1_sel:WORD_1
	v_mov_b32_e32 v10, v7
	s_and_b64 vcc, exec, s[0:1]
	v_mov_b32_e32 v6, 0
	s_cbranch_vccnz .LBB0_8
; %bb.1:
	s_load_dwordx2 s[0:1], s[4:5], 0x10
	s_add_u32 s6, s18, 8
	s_addc_u32 s7, s19, 0
	s_add_u32 s22, s16, 8
	s_addc_u32 s23, s17, 0
	v_mov_b32_e32 v5, 0
	s_waitcnt lgkmcnt(0)
	s_add_u32 s24, s0, 8
	v_mov_b32_e32 v6, 0
	v_mov_b32_e32 v1, v5
	s_addc_u32 s25, s1, 0
	s_mov_b64 s[26:27], 1
	v_mov_b32_e32 v2, v6
.LBB0_2:                                ; =>This Inner Loop Header: Depth=1
	s_load_dwordx2 s[28:29], s[24:25], 0x0
                                        ; implicit-def: $vgpr3_vgpr4
	s_waitcnt lgkmcnt(0)
	v_or_b32_e32 v8, s29, v10
	v_cmp_ne_u64_e32 vcc, 0, v[7:8]
	s_and_saveexec_b64 s[0:1], vcc
	s_xor_b64 s[30:31], exec, s[0:1]
	s_cbranch_execz .LBB0_4
; %bb.3:                                ;   in Loop: Header=BB0_2 Depth=1
	v_cvt_f32_u32_e32 v3, s28
	v_cvt_f32_u32_e32 v4, s29
	s_sub_u32 s0, 0, s28
	s_subb_u32 s1, 0, s29
	v_mac_f32_e32 v3, 0x4f800000, v4
	v_rcp_f32_e32 v3, v3
	v_mul_f32_e32 v3, 0x5f7ffffc, v3
	v_mul_f32_e32 v4, 0x2f800000, v3
	v_trunc_f32_e32 v4, v4
	v_mac_f32_e32 v3, 0xcf800000, v4
	v_cvt_u32_f32_e32 v4, v4
	v_cvt_u32_f32_e32 v3, v3
	v_mul_lo_u32 v8, s0, v4
	v_mul_hi_u32 v11, s0, v3
	v_mul_lo_u32 v13, s1, v3
	v_mul_lo_u32 v12, s0, v3
	v_add_u32_e32 v8, v11, v8
	v_add_u32_e32 v8, v8, v13
	v_mul_hi_u32 v11, v3, v12
	v_mul_lo_u32 v13, v3, v8
	v_mul_hi_u32 v15, v3, v8
	v_mul_hi_u32 v14, v4, v12
	v_mul_lo_u32 v12, v4, v12
	v_mul_hi_u32 v16, v4, v8
	v_add_co_u32_e32 v11, vcc, v11, v13
	v_addc_co_u32_e32 v13, vcc, 0, v15, vcc
	v_mul_lo_u32 v8, v4, v8
	v_add_co_u32_e32 v11, vcc, v11, v12
	v_addc_co_u32_e32 v11, vcc, v13, v14, vcc
	v_addc_co_u32_e32 v12, vcc, 0, v16, vcc
	v_add_co_u32_e32 v8, vcc, v11, v8
	v_addc_co_u32_e32 v11, vcc, 0, v12, vcc
	v_add_co_u32_e32 v3, vcc, v3, v8
	v_addc_co_u32_e32 v4, vcc, v4, v11, vcc
	v_mul_lo_u32 v8, s0, v4
	v_mul_hi_u32 v11, s0, v3
	v_mul_lo_u32 v12, s1, v3
	v_mul_lo_u32 v13, s0, v3
	v_add_u32_e32 v8, v11, v8
	v_add_u32_e32 v8, v8, v12
	v_mul_lo_u32 v14, v3, v8
	v_mul_hi_u32 v15, v3, v13
	v_mul_hi_u32 v16, v3, v8
	;; [unrolled: 1-line block ×3, first 2 shown]
	v_mul_lo_u32 v13, v4, v13
	v_mul_hi_u32 v11, v4, v8
	v_add_co_u32_e32 v14, vcc, v15, v14
	v_addc_co_u32_e32 v15, vcc, 0, v16, vcc
	v_mul_lo_u32 v8, v4, v8
	v_add_co_u32_e32 v13, vcc, v14, v13
	v_addc_co_u32_e32 v12, vcc, v15, v12, vcc
	v_addc_co_u32_e32 v11, vcc, 0, v11, vcc
	v_add_co_u32_e32 v8, vcc, v12, v8
	v_addc_co_u32_e32 v11, vcc, 0, v11, vcc
	v_add_co_u32_e32 v8, vcc, v3, v8
	v_addc_co_u32_e32 v11, vcc, v4, v11, vcc
	v_mad_u64_u32 v[3:4], s[0:1], v9, v11, 0
	v_mul_hi_u32 v12, v9, v8
	v_add_co_u32_e32 v13, vcc, v12, v3
	v_addc_co_u32_e32 v14, vcc, 0, v4, vcc
	v_mad_u64_u32 v[3:4], s[0:1], v10, v8, 0
	v_mad_u64_u32 v[11:12], s[0:1], v10, v11, 0
	v_add_co_u32_e32 v3, vcc, v13, v3
	v_addc_co_u32_e32 v3, vcc, v14, v4, vcc
	v_addc_co_u32_e32 v4, vcc, 0, v12, vcc
	v_add_co_u32_e32 v8, vcc, v3, v11
	v_addc_co_u32_e32 v11, vcc, 0, v4, vcc
	v_mul_lo_u32 v12, s29, v8
	v_mul_lo_u32 v13, s28, v11
	v_mad_u64_u32 v[3:4], s[0:1], s28, v8, 0
	v_add3_u32 v4, v4, v13, v12
	v_sub_u32_e32 v12, v10, v4
	v_mov_b32_e32 v13, s29
	v_sub_co_u32_e32 v3, vcc, v9, v3
	v_subb_co_u32_e64 v12, s[0:1], v12, v13, vcc
	v_subrev_co_u32_e64 v13, s[0:1], s28, v3
	v_subbrev_co_u32_e64 v12, s[0:1], 0, v12, s[0:1]
	v_cmp_le_u32_e64 s[0:1], s29, v12
	v_cndmask_b32_e64 v14, 0, -1, s[0:1]
	v_cmp_le_u32_e64 s[0:1], s28, v13
	v_cndmask_b32_e64 v13, 0, -1, s[0:1]
	v_cmp_eq_u32_e64 s[0:1], s29, v12
	v_cndmask_b32_e64 v12, v14, v13, s[0:1]
	v_add_co_u32_e64 v13, s[0:1], 2, v8
	v_addc_co_u32_e64 v14, s[0:1], 0, v11, s[0:1]
	v_add_co_u32_e64 v15, s[0:1], 1, v8
	v_addc_co_u32_e64 v16, s[0:1], 0, v11, s[0:1]
	v_subb_co_u32_e32 v4, vcc, v10, v4, vcc
	v_cmp_ne_u32_e64 s[0:1], 0, v12
	v_cmp_le_u32_e32 vcc, s29, v4
	v_cndmask_b32_e64 v12, v16, v14, s[0:1]
	v_cndmask_b32_e64 v14, 0, -1, vcc
	v_cmp_le_u32_e32 vcc, s28, v3
	v_cndmask_b32_e64 v3, 0, -1, vcc
	v_cmp_eq_u32_e32 vcc, s29, v4
	v_cndmask_b32_e32 v3, v14, v3, vcc
	v_cmp_ne_u32_e32 vcc, 0, v3
	v_cndmask_b32_e64 v3, v15, v13, s[0:1]
	v_cndmask_b32_e32 v4, v11, v12, vcc
	v_cndmask_b32_e32 v3, v8, v3, vcc
.LBB0_4:                                ;   in Loop: Header=BB0_2 Depth=1
	s_andn2_saveexec_b64 s[0:1], s[30:31]
	s_cbranch_execz .LBB0_6
; %bb.5:                                ;   in Loop: Header=BB0_2 Depth=1
	v_cvt_f32_u32_e32 v3, s28
	s_sub_i32 s30, 0, s28
	v_rcp_iflag_f32_e32 v3, v3
	v_mul_f32_e32 v3, 0x4f7ffffe, v3
	v_cvt_u32_f32_e32 v3, v3
	v_mul_lo_u32 v4, s30, v3
	v_mul_hi_u32 v4, v3, v4
	v_add_u32_e32 v3, v3, v4
	v_mul_hi_u32 v3, v9, v3
	v_mul_lo_u32 v4, v3, s28
	v_add_u32_e32 v8, 1, v3
	v_sub_u32_e32 v4, v9, v4
	v_subrev_u32_e32 v11, s28, v4
	v_cmp_le_u32_e32 vcc, s28, v4
	v_cndmask_b32_e32 v4, v4, v11, vcc
	v_cndmask_b32_e32 v3, v3, v8, vcc
	v_add_u32_e32 v8, 1, v3
	v_cmp_le_u32_e32 vcc, s28, v4
	v_cndmask_b32_e32 v3, v3, v8, vcc
	v_mov_b32_e32 v4, v7
.LBB0_6:                                ;   in Loop: Header=BB0_2 Depth=1
	s_or_b64 exec, exec, s[0:1]
	v_mul_lo_u32 v8, v4, s28
	v_mul_lo_u32 v13, v3, s29
	v_mad_u64_u32 v[11:12], s[0:1], v3, s28, 0
	s_load_dwordx2 s[0:1], s[22:23], 0x0
	s_load_dwordx2 s[28:29], s[6:7], 0x0
	v_add3_u32 v8, v12, v13, v8
	v_sub_co_u32_e32 v9, vcc, v9, v11
	v_subb_co_u32_e32 v8, vcc, v10, v8, vcc
	s_waitcnt lgkmcnt(0)
	v_mul_lo_u32 v10, s0, v8
	v_mul_lo_u32 v11, s1, v9
	v_mad_u64_u32 v[5:6], s[0:1], s0, v9, v[5:6]
	v_mul_lo_u32 v8, s28, v8
	v_mul_lo_u32 v12, s29, v9
	v_mad_u64_u32 v[1:2], s[0:1], s28, v9, v[1:2]
	s_add_u32 s26, s26, 1
	s_addc_u32 s27, s27, 0
	s_add_u32 s6, s6, 8
	v_add3_u32 v2, v12, v2, v8
	s_addc_u32 s7, s7, 0
	v_mov_b32_e32 v8, s10
	s_add_u32 s22, s22, 8
	v_mov_b32_e32 v9, s11
	s_addc_u32 s23, s23, 0
	v_cmp_ge_u64_e32 vcc, s[26:27], v[8:9]
	s_add_u32 s24, s24, 8
	v_add3_u32 v6, v11, v6, v10
	s_addc_u32 s25, s25, 0
	s_cbranch_vccnz .LBB0_9
; %bb.7:                                ;   in Loop: Header=BB0_2 Depth=1
	v_mov_b32_e32 v10, v4
	v_mov_b32_e32 v9, v3
	s_branch .LBB0_2
.LBB0_8:
	v_mov_b32_e32 v1, v5
	v_mov_b32_e32 v3, v9
	;; [unrolled: 1-line block ×4, first 2 shown]
.LBB0_9:
	s_load_dwordx2 s[0:1], s[4:5], 0x28
	s_lshl_b64 s[10:11], s[10:11], 3
	s_add_u32 s4, s18, s10
	s_addc_u32 s5, s19, s11
                                        ; implicit-def: $sgpr18
                                        ; implicit-def: $vgpr7
                                        ; implicit-def: $vgpr9
                                        ; implicit-def: $vgpr8
                                        ; implicit-def: $vgpr12
                                        ; implicit-def: $vgpr10
                                        ; implicit-def: $vgpr11
                                        ; implicit-def: $vgpr14
                                        ; implicit-def: $vgpr16
                                        ; implicit-def: $vgpr17
	s_waitcnt lgkmcnt(0)
	v_cmp_gt_u64_e32 vcc, s[0:1], v[3:4]
	v_cmp_le_u64_e64 s[0:1], s[0:1], v[3:4]
	s_and_saveexec_b64 s[6:7], s[0:1]
	s_xor_b64 s[0:1], exec, s[6:7]
	s_cbranch_execz .LBB0_11
; %bb.10:
	s_mov_b32 s6, 0x4924925
	v_mul_hi_u32 v5, v0, s6
	s_mov_b32 s18, 0
	v_mul_u32_u24_e32 v5, 56, v5
	v_sub_u32_e32 v7, v0, v5
	v_add_u32_e32 v9, 56, v7
	v_add_u32_e32 v8, 0x70, v7
	;; [unrolled: 1-line block ×7, first 2 shown]
	v_or_b32_e32 v17, 0x1c0, v7
                                        ; implicit-def: $vgpr0
                                        ; implicit-def: $vgpr5_vgpr6
.LBB0_11:
	s_or_saveexec_b64 s[6:7], s[0:1]
	v_mov_b32_e32 v13, s18
	v_mov_b32_e32 v30, s18
	;; [unrolled: 1-line block ×9, first 2 shown]
                                        ; implicit-def: $vgpr26
                                        ; implicit-def: $vgpr20
                                        ; implicit-def: $vgpr45
                                        ; implicit-def: $vgpr19
                                        ; implicit-def: $vgpr44
                                        ; implicit-def: $vgpr18
                                        ; implicit-def: $vgpr43
                                        ; implicit-def: $vgpr15
                                        ; implicit-def: $vgpr41
                                        ; implicit-def: $vgpr24
                                        ; implicit-def: $vgpr40
                                        ; implicit-def: $vgpr23
                                        ; implicit-def: $vgpr39
                                        ; implicit-def: $vgpr22
                                        ; implicit-def: $vgpr38
                                        ; implicit-def: $vgpr21
                                        ; implicit-def: $vgpr37
                                        ; implicit-def: $vgpr25
	s_xor_b64 exec, exec, s[6:7]
	s_cbranch_execz .LBB0_13
; %bb.12:
	s_add_u32 s0, s16, s10
	s_mov_b32 s10, 0x4924925
	v_mul_hi_u32 v7, v0, s10
	s_addc_u32 s1, s17, s11
	s_load_dwordx2 s[0:1], s[0:1], 0x0
	v_lshlrev_b64 v[5:6], 2, v[5:6]
	v_mul_u32_u24_e32 v7, 56, v7
	v_sub_u32_e32 v7, v0, v7
	v_mad_u64_u32 v[8:9], s[10:11], s20, v7, 0
	s_waitcnt lgkmcnt(0)
	v_mul_lo_u32 v14, s1, v3
	v_mul_lo_u32 v15, s0, v4
	v_mad_u64_u32 v[10:11], s[0:1], s0, v3, 0
	v_mov_b32_e32 v0, v9
	v_mad_u64_u32 v[12:13], s[0:1], s21, v7, v[0:1]
	v_add3_u32 v11, v11, v15, v14
	v_lshlrev_b64 v[10:11], 2, v[10:11]
	v_mov_b32_e32 v9, v12
	v_mov_b32_e32 v0, s13
	v_add_co_u32_e64 v12, s[0:1], s12, v10
	v_add_u32_e32 v13, 0x1f8, v7
	v_addc_co_u32_e64 v0, s[0:1], v0, v11, s[0:1]
	v_mad_u64_u32 v[10:11], s[0:1], s20, v13, 0
	v_add_co_u32_e64 v29, s[0:1], v12, v5
	v_addc_co_u32_e64 v52, s[0:1], v0, v6, s[0:1]
	v_mov_b32_e32 v0, v11
	v_lshlrev_b64 v[5:6], 2, v[8:9]
	v_mad_u64_u32 v[8:9], s[0:1], s21, v13, v[0:1]
	v_add_u32_e32 v9, 56, v7
	v_mad_u64_u32 v[12:13], s[0:1], s20, v9, 0
	v_add_co_u32_e64 v5, s[0:1], v29, v5
	v_mov_b32_e32 v0, v13
	v_addc_co_u32_e64 v6, s[0:1], v52, v6, s[0:1]
	v_mov_b32_e32 v11, v8
	v_mad_u64_u32 v[13:14], s[0:1], s21, v9, v[0:1]
	v_add_u32_e32 v8, 0x230, v7
	v_mad_u64_u32 v[14:15], s[0:1], s20, v8, 0
	v_lshlrev_b64 v[10:11], 2, v[10:11]
	v_add_u32_e32 v20, 0x2a0, v7
	v_add_co_u32_e64 v16, s[0:1], v29, v10
	v_mov_b32_e32 v0, v15
	v_addc_co_u32_e64 v17, s[0:1], v52, v11, s[0:1]
	v_lshlrev_b64 v[10:11], 2, v[12:13]
	v_mad_u64_u32 v[12:13], s[0:1], s21, v8, v[0:1]
	v_add_u32_e32 v8, 0x70, v7
	v_mad_u64_u32 v[18:19], s[0:1], s20, v8, 0
	v_add_co_u32_e64 v21, s[0:1], v29, v10
	v_mov_b32_e32 v15, v12
	v_mov_b32_e32 v0, v19
	v_addc_co_u32_e64 v22, s[0:1], v52, v11, s[0:1]
	v_lshlrev_b64 v[10:11], 2, v[14:15]
	v_mad_u64_u32 v[12:13], s[0:1], s21, v8, v[0:1]
	v_add_u32_e32 v15, 0x268, v7
	v_mad_u64_u32 v[13:14], s[0:1], s20, v15, 0
	v_add_co_u32_e64 v23, s[0:1], v29, v10
	v_mov_b32_e32 v19, v12
	v_add_u32_e32 v12, 0xa8, v7
	v_addc_co_u32_e64 v24, s[0:1], v52, v11, s[0:1]
	v_lshlrev_b64 v[10:11], 2, v[18:19]
	v_mov_b32_e32 v0, v14
	v_mad_u64_u32 v[18:19], s[0:1], s20, v12, 0
	v_mad_u64_u32 v[14:15], s[0:1], s21, v15, v[0:1]
	v_add_co_u32_e64 v25, s[0:1], v29, v10
	v_mov_b32_e32 v0, v19
	v_addc_co_u32_e64 v26, s[0:1], v52, v11, s[0:1]
	v_lshlrev_b64 v[10:11], 2, v[13:14]
	v_mad_u64_u32 v[13:14], s[0:1], s21, v12, v[0:1]
	v_mad_u64_u32 v[14:15], s[0:1], s20, v20, 0
	v_add_co_u32_e64 v27, s[0:1], v29, v10
	v_mov_b32_e32 v19, v13
	v_mov_b32_e32 v0, v15
	v_addc_co_u32_e64 v28, s[0:1], v52, v11, s[0:1]
	v_lshlrev_b64 v[10:11], 2, v[18:19]
	v_mad_u64_u32 v[18:19], s[0:1], s21, v20, v[0:1]
	v_add_co_u32_e64 v33, s[0:1], v29, v10
	v_mov_b32_e32 v15, v18
	v_lshlrev_b64 v[13:14], 2, v[14:15]
	v_add_u32_e32 v10, 0xe0, v7
	v_addc_co_u32_e64 v34, s[0:1], v52, v11, s[0:1]
	v_mad_u64_u32 v[35:36], s[0:1], s20, v10, 0
	v_add_co_u32_e64 v37, s[0:1], v29, v13
	v_add_u32_e32 v11, 0x2d8, v7
	v_addc_co_u32_e64 v38, s[0:1], v52, v14, s[0:1]
	v_mad_u64_u32 v[39:40], s[0:1], s20, v11, 0
	v_mov_b32_e32 v0, v36
	v_mad_u64_u32 v[14:15], s[0:1], s21, v10, v[0:1]
	v_mov_b32_e32 v0, v40
	global_load_dword v13, v[5:6], off
	global_load_dword v20, v[16:17], off
	;; [unrolled: 1-line block ×8, first 2 shown]
	v_mad_u64_u32 v[16:17], s[0:1], s21, v11, v[0:1]
	v_add_u32_e32 v11, 0x118, v7
	v_mad_u64_u32 v[21:22], s[0:1], s20, v11, 0
	v_mov_b32_e32 v36, v14
	v_lshlrev_b64 v[5:6], 2, v[35:36]
	v_mov_b32_e32 v0, v22
	v_add_co_u32_e64 v5, s[0:1], v29, v5
	v_addc_co_u32_e64 v6, s[0:1], v52, v6, s[0:1]
	v_mad_u64_u32 v[22:23], s[0:1], s21, v11, v[0:1]
	v_add_u32_e32 v14, 0x310, v7
	v_mad_u64_u32 v[23:24], s[0:1], s20, v14, 0
	v_mov_b32_e32 v40, v16
	v_lshlrev_b64 v[16:17], 2, v[39:40]
	v_mov_b32_e32 v0, v24
	v_add_co_u32_e64 v25, s[0:1], v29, v16
	v_addc_co_u32_e64 v26, s[0:1], v52, v17, s[0:1]
	v_lshlrev_b64 v[16:17], 2, v[21:22]
	v_mad_u64_u32 v[21:22], s[0:1], s21, v14, v[0:1]
	v_add_u32_e32 v14, 0x150, v7
	v_mad_u64_u32 v[27:28], s[0:1], s20, v14, 0
	v_add_co_u32_e64 v37, s[0:1], v29, v16
	v_mov_b32_e32 v24, v21
	v_mov_b32_e32 v0, v28
	v_addc_co_u32_e64 v38, s[0:1], v52, v17, s[0:1]
	v_lshlrev_b64 v[16:17], 2, v[23:24]
	v_mad_u64_u32 v[21:22], s[0:1], s21, v14, v[0:1]
	v_add_u32_e32 v24, 0x348, v7
	v_mad_u64_u32 v[22:23], s[0:1], s20, v24, 0
	v_add_co_u32_e64 v39, s[0:1], v29, v16
	v_add_u32_e32 v16, 0x188, v7
	v_addc_co_u32_e64 v40, s[0:1], v52, v17, s[0:1]
	v_mov_b32_e32 v0, v23
	v_mad_u64_u32 v[33:34], s[0:1], s20, v16, 0
	v_mov_b32_e32 v28, v21
	v_mad_u64_u32 v[23:24], s[0:1], s21, v24, v[0:1]
	v_lshlrev_b64 v[27:28], 2, v[27:28]
	v_mov_b32_e32 v0, v34
	v_add_co_u32_e64 v27, s[0:1], v29, v27
	v_or_b32_e32 v17, 0x380, v7
	v_addc_co_u32_e64 v28, s[0:1], v52, v28, s[0:1]
	v_lshlrev_b64 v[21:22], 2, v[22:23]
	v_mad_u64_u32 v[23:24], s[0:1], s21, v16, v[0:1]
	v_mad_u64_u32 v[35:36], s[0:1], s20, v17, 0
	v_add_co_u32_e64 v41, s[0:1], v29, v21
	v_mov_b32_e32 v34, v23
	v_mov_b32_e32 v0, v36
	v_addc_co_u32_e64 v42, s[0:1], v52, v22, s[0:1]
	v_lshlrev_b64 v[21:22], 2, v[33:34]
	v_mad_u64_u32 v[23:24], s[0:1], s21, v17, v[0:1]
	v_add_co_u32_e64 v43, s[0:1], v29, v21
	v_or_b32_e32 v17, 0x1c0, v7
	v_addc_co_u32_e64 v44, s[0:1], v52, v22, s[0:1]
	v_mad_u64_u32 v[45:46], s[0:1], s20, v17, 0
	v_mov_b32_e32 v36, v23
	v_lshlrev_b64 v[21:22], 2, v[35:36]
	v_mov_b32_e32 v0, v46
	v_add_co_u32_e64 v47, s[0:1], v29, v21
	v_addc_co_u32_e64 v48, s[0:1], v52, v22, s[0:1]
	v_mad_u64_u32 v[49:50], s[0:1], s21, v17, v[0:1]
	v_add_u32_e32 v53, 0x3b8, v7
	v_mad_u64_u32 v[50:51], s[0:1], s20, v53, 0
	global_load_dword v36, v[5:6], off
	global_load_dword v24, v[25:26], off
	;; [unrolled: 1-line block ×8, first 2 shown]
	v_mov_b32_e32 v46, v49
	v_mov_b32_e32 v0, v51
	v_mad_u64_u32 v[25:26], s[0:1], s21, v53, v[0:1]
	v_lshlrev_b64 v[5:6], 2, v[45:46]
	s_waitcnt vmcnt(12)
	v_lshrrev_b32_e32 v45, 16, v19
	v_mov_b32_e32 v51, v25
	v_add_co_u32_e64 v5, s[0:1], v29, v5
	v_lshlrev_b64 v[25:26], 2, v[50:51]
	v_addc_co_u32_e64 v6, s[0:1], v52, v6, s[0:1]
	v_add_co_u32_e64 v27, s[0:1], v29, v25
	v_addc_co_u32_e64 v28, s[0:1], v52, v26, s[0:1]
	global_load_dword v25, v[27:28], off
	global_load_dword v42, v[5:6], off
	v_lshrrev_b32_e32 v26, 16, v20
	s_waitcnt vmcnt(12)
	v_lshrrev_b32_e32 v44, 16, v18
	s_waitcnt vmcnt(10)
	;; [unrolled: 2-line block ×7, first 2 shown]
	v_lshrrev_b32_e32 v37, 16, v25
.LBB0_13:
	s_or_b64 exec, exec, s[6:7]
	v_lshrrev_b32_e32 v0, 16, v13
	v_sub_f16_e32 v5, v13, v20
	v_sub_f16_e32 v20, v0, v26
	v_fma_f16 v28, v0, 2.0, -v20
	v_sub_f16_e32 v0, v30, v19
	v_fma_f16 v6, v13, 2.0, -v5
	v_fma_f16 v13, v30, 2.0, -v0
	v_sub_f16_e32 v18, v32, v18
	v_sub_f16_e32 v15, v31, v15
	;; [unrolled: 1-line block ×3, first 2 shown]
	v_fma_f16 v19, v32, 2.0, -v18
	v_fma_f16 v26, v31, 2.0, -v15
	;; [unrolled: 1-line block ×3, first 2 shown]
	v_sub_f16_e32 v23, v35, v23
	v_pack_b32_f16 v5, v6, v5
	v_lshl_add_u32 v50, v7, 2, 0
	v_pack_b32_f16 v6, v13, v0
	v_lshl_add_u32 v0, v9, 2, 0
	v_fma_f16 v46, v35, 2.0, -v23
	v_sub_f16_e32 v22, v34, v22
	v_sub_f16_e32 v21, v33, v21
	s_waitcnt vmcnt(0)
	v_sub_f16_e32 v49, v42, v25
	ds_write_b32 v50, v5
	ds_write_b32 v0, v6
	v_pack_b32_f16 v13, v19, v18
	v_lshl_add_u32 v6, v8, 2, 0
	v_pack_b32_f16 v15, v26, v15
	v_lshl_add_u32 v51, v12, 2, 0
	;; [unrolled: 2-line block ×3, first 2 shown]
	v_lshrrev_b32_e32 v30, 16, v30
	v_fma_f16 v47, v34, 2.0, -v22
	v_fma_f16 v48, v33, 2.0, -v21
	;; [unrolled: 1-line block ×3, first 2 shown]
	ds_write_b32 v6, v13
	ds_write_b32 v51, v15
	;; [unrolled: 1-line block ×3, first 2 shown]
	v_pack_b32_f16 v18, v46, v23
	v_lshl_add_u32 v46, v11, 2, 0
	v_sub_f16_e32 v45, v30, v45
	v_lshlrev_b32_e32 v27, 1, v7
	v_lshlrev_b32_e32 v26, 1, v12
	ds_write_b32 v46, v18
	v_pack_b32_f16 v18, v47, v22
	v_lshl_add_u32 v47, v14, 2, 0
	v_lshlrev_b32_e32 v23, 1, v14
	v_pack_b32_f16 v14, v48, v21
	v_lshlrev_b32_e32 v22, 1, v16
	v_lshl_add_u32 v48, v16, 2, 0
	v_lshl_add_u32 v53, v17, 2, 0
	v_pack_b32_f16 v5, v5, v49
	v_fma_f16 v30, v30, 2.0, -v45
	v_lshlrev_b32_e32 v13, 1, v9
	v_lshlrev_b32_e32 v15, 1, v8
	;; [unrolled: 1-line block ×3, first 2 shown]
	ds_write_b32 v47, v18
	v_lshlrev_b32_e32 v24, 1, v11
	ds_write_b32 v48, v14
	v_lshlrev_b32_e32 v21, 1, v17
	ds_write_b32 v53, v5
	v_sub_u32_e32 v5, v50, v27
	v_pack_b32_f16 v49, v28, v20
	v_sub_u32_e32 v17, v51, v26
	v_sub_u32_e32 v28, v48, v22
	v_pack_b32_f16 v30, v30, v45
	s_load_dwordx2 s[4:5], s[4:5], 0x0
	s_waitcnt lgkmcnt(0)
	; wave barrier
	s_waitcnt lgkmcnt(0)
	v_sub_u32_e32 v14, v0, v13
	v_sub_u32_e32 v16, v6, v15
	;; [unrolled: 1-line block ×5, first 2 shown]
	ds_read_u16 v54, v17
	ds_read_u16 v55, v18
	;; [unrolled: 1-line block ×5, first 2 shown]
	ds_read_u16 v59, v5 offset:1008
	ds_read_u16 v60, v5 offset:1120
	;; [unrolled: 1-line block ×8, first 2 shown]
	v_sub_u32_e32 v29, v53, v21
	ds_read_u16 v67, v28
	ds_read_u16 v68, v29
	;; [unrolled: 1-line block ×4, first 2 shown]
	ds_read_u16 v71, v5 offset:1904
	s_waitcnt lgkmcnt(0)
	; wave barrier
	s_waitcnt lgkmcnt(0)
	ds_write_b32 v50, v49
	ds_write_b32 v0, v30
	v_lshrrev_b32_e32 v30, 16, v32
	v_sub_f16_e32 v32, v30, v44
	v_fma_f16 v30, v30, 2.0, -v32
	v_pack_b32_f16 v30, v30, v32
	ds_write_b32 v6, v30
	v_lshrrev_b32_e32 v30, 16, v31
	v_sub_f16_e32 v31, v30, v43
	v_fma_f16 v30, v30, 2.0, -v31
	v_pack_b32_f16 v30, v30, v31
	ds_write_b32 v51, v30
	v_lshrrev_b32_e32 v30, 16, v36
	v_sub_f16_e32 v31, v30, v41
	v_fma_f16 v30, v30, 2.0, -v31
	v_pack_b32_f16 v30, v30, v31
	ds_write_b32 v52, v30
	v_lshrrev_b32_e32 v30, 16, v35
	v_sub_f16_e32 v31, v30, v40
	v_fma_f16 v30, v30, 2.0, -v31
	v_pack_b32_f16 v30, v30, v31
	ds_write_b32 v46, v30
	v_lshrrev_b32_e32 v30, 16, v34
	v_sub_f16_e32 v31, v30, v39
	v_fma_f16 v30, v30, 2.0, -v31
	v_pack_b32_f16 v30, v30, v31
	ds_write_b32 v47, v30
	v_lshrrev_b32_e32 v30, 16, v33
	v_sub_f16_e32 v31, v30, v38
	v_fma_f16 v30, v30, 2.0, -v31
	v_pack_b32_f16 v30, v30, v31
	ds_write_b32 v48, v30
	v_lshrrev_b32_e32 v30, 16, v42
	v_sub_f16_e32 v31, v30, v37
	v_fma_f16 v30, v30, 2.0, -v31
	v_pack_b32_f16 v30, v30, v31
	ds_write_b32 v53, v30
	v_and_b32_e32 v30, 1, v7
	v_lshlrev_b32_e32 v31, 2, v30
	s_waitcnt lgkmcnt(0)
	; wave barrier
	s_waitcnt lgkmcnt(0)
	global_load_dword v31, v31, s[8:9]
	ds_read_u16 v32, v5 offset:1008
	ds_read_u16 v33, v5 offset:1120
	;; [unrolled: 1-line block ×7, first 2 shown]
	ds_read_u16 v39, v5
	s_movk_i32 s0, 0x7c
	s_movk_i32 s1, 0x2fc
	s_mov_b32 s10, 0xbaee
	s_movk_i32 s11, 0x3aee
	s_waitcnt vmcnt(0)
	v_mul_f16_sdwa v41, v59, v31 dst_sel:DWORD dst_unused:UNUSED_PAD src0_sel:DWORD src1_sel:WORD_1
	v_mul_f16_sdwa v42, v60, v31 dst_sel:DWORD dst_unused:UNUSED_PAD src0_sel:DWORD src1_sel:WORD_1
	s_waitcnt lgkmcnt(7)
	v_mul_f16_sdwa v40, v32, v31 dst_sel:DWORD dst_unused:UNUSED_PAD src0_sel:DWORD src1_sel:WORD_1
	v_fma_f16 v32, v32, v31, -v41
	s_waitcnt lgkmcnt(6)
	v_mul_f16_sdwa v41, v33, v31 dst_sel:DWORD dst_unused:UNUSED_PAD src0_sel:DWORD src1_sel:WORD_1
	v_fma_f16 v33, v33, v31, -v42
	s_waitcnt lgkmcnt(5)
	v_mul_f16_sdwa v42, v34, v31 dst_sel:DWORD dst_unused:UNUSED_PAD src0_sel:DWORD src1_sel:WORD_1
	v_mul_f16_sdwa v43, v61, v31 dst_sel:DWORD dst_unused:UNUSED_PAD src0_sel:DWORD src1_sel:WORD_1
	;; [unrolled: 1-line block ×6, first 2 shown]
	v_fma_f16 v40, v59, v31, v40
	v_fma_f16 v42, v61, v31, v42
	v_fma_f16 v34, v34, v31, -v43
	s_waitcnt lgkmcnt(4)
	v_mul_f16_sdwa v43, v35, v31 dst_sel:DWORD dst_unused:UNUSED_PAD src0_sel:DWORD src1_sel:WORD_1
	v_fma_f16 v35, v35, v31, -v44
	s_waitcnt lgkmcnt(3)
	v_mul_f16_sdwa v44, v36, v31 dst_sel:DWORD dst_unused:UNUSED_PAD src0_sel:DWORD src1_sel:WORD_1
	;; [unrolled: 3-line block ×4, first 2 shown]
	v_fma_f16 v38, v38, v31, -v47
	ds_read_u16 v47, v5 offset:1792
	ds_read_u16 v48, v5 offset:1904
	ds_read_u16 v49, v17
	ds_read_u16 v50, v18
	ds_read_u16 v51, v19
	ds_read_u16 v52, v20
	ds_read_u16 v53, v16
	ds_read_u16 v59, v14
	v_mul_f16_sdwa v61, v66, v31 dst_sel:DWORD dst_unused:UNUSED_PAD src0_sel:DWORD src1_sel:WORD_1
	v_fma_f16 v41, v60, v31, v41
	v_fma_f16 v43, v62, v31, v43
	v_fma_f16 v44, v63, v31, v44
	s_waitcnt lgkmcnt(7)
	v_mul_f16_sdwa v60, v47, v31 dst_sel:DWORD dst_unused:UNUSED_PAD src0_sel:DWORD src1_sel:WORD_1
	v_fma_f16 v47, v47, v31, -v61
	s_waitcnt lgkmcnt(6)
	v_mul_f16_sdwa v61, v48, v31 dst_sel:DWORD dst_unused:UNUSED_PAD src0_sel:DWORD src1_sel:WORD_1
	v_mul_f16_sdwa v62, v71, v31 dst_sel:DWORD dst_unused:UNUSED_PAD src0_sel:DWORD src1_sel:WORD_1
	v_sub_f16_e32 v40, v58, v40
	v_and_or_b32 v63, v27, s0, v30
	v_fma_f16 v45, v64, v31, v45
	v_fma_f16 v46, v65, v31, v46
	v_fma_f16 v60, v66, v31, v60
	v_fma_f16 v61, v71, v31, v61
	v_fma_f16 v31, v48, v31, -v62
	v_fma_f16 v48, v58, 2.0, -v40
	v_lshl_add_u32 v63, v63, 1, 0
	s_movk_i32 s0, 0xfc
	ds_read_u16 v58, v28
	ds_read_u16 v62, v29
	s_waitcnt lgkmcnt(0)
	; wave barrier
	s_waitcnt lgkmcnt(0)
	ds_write_b16 v63, v48
	ds_write_b16 v63, v40 offset:4
	v_sub_f16_e32 v40, v70, v41
	v_and_or_b32 v48, v13, s0, v30
	v_fma_f16 v41, v70, 2.0, -v40
	v_lshl_add_u32 v48, v48, 1, 0
	s_movk_i32 s0, 0x1fc
	ds_write_b16 v48, v41
	ds_write_b16 v48, v40 offset:4
	v_sub_f16_e32 v40, v69, v42
	v_and_or_b32 v42, v15, s0, v30
	v_fma_f16 v41, v69, 2.0, -v40
	v_lshl_add_u32 v42, v42, 1, 0
	ds_write_b16 v42, v41
	ds_write_b16 v42, v40 offset:4
	v_sub_f16_e32 v40, v54, v43
	v_and_or_b32 v43, v26, s0, v30
	v_fma_f16 v41, v54, 2.0, -v40
	v_lshl_add_u32 v43, v43, 1, 0
	s_movk_i32 s0, 0x3fc
	ds_write_b16 v43, v41
	ds_write_b16 v43, v40 offset:4
	v_sub_f16_e32 v40, v55, v44
	v_and_or_b32 v44, v25, s0, v30
	v_fma_f16 v41, v55, 2.0, -v40
	v_lshl_add_u32 v44, v44, 1, 0
	ds_write_b16 v44, v41
	ds_write_b16 v44, v40 offset:4
	v_sub_f16_e32 v40, v56, v45
	v_and_or_b32 v45, v24, s1, v30
	v_fma_f16 v41, v56, 2.0, -v40
	v_lshl_add_u32 v45, v45, 1, 0
	;; [unrolled: 6-line block ×4, first 2 shown]
	ds_write_b16 v54, v41
	ds_write_b16 v54, v40 offset:4
	v_sub_f16_e32 v40, v68, v61
	v_and_or_b32 v30, v21, s0, v30
	v_sub_f16_e32 v32, v39, v32
	v_fma_f16 v41, v68, 2.0, -v40
	v_lshl_add_u32 v30, v30, 1, 0
	v_fma_f16 v39, v39, 2.0, -v32
	ds_write_b16 v30, v41
	ds_write_b16 v30, v40 offset:4
	s_waitcnt lgkmcnt(0)
	; wave barrier
	s_waitcnt lgkmcnt(0)
	ds_read_u16 v40, v17
	ds_read_u16 v41, v18
	;; [unrolled: 1-line block ×5, first 2 shown]
	ds_read_u16 v60, v5 offset:1008
	ds_read_u16 v61, v5 offset:1120
	;; [unrolled: 1-line block ×8, first 2 shown]
	ds_read_u16 v70, v28
	ds_read_u16 v71, v29
	;; [unrolled: 1-line block ×4, first 2 shown]
	ds_read_u16 v74, v5 offset:1904
	s_waitcnt lgkmcnt(0)
	; wave barrier
	s_waitcnt lgkmcnt(0)
	ds_write_b16 v63, v39
	ds_write_b16 v63, v32 offset:4
	v_sub_f16_e32 v32, v59, v33
	v_fma_f16 v33, v59, 2.0, -v32
	ds_write_b16 v48, v33
	ds_write_b16 v48, v32 offset:4
	v_sub_f16_e32 v32, v53, v34
	v_fma_f16 v33, v53, 2.0, -v32
	;; [unrolled: 4-line block ×7, first 2 shown]
	v_sub_f16_e32 v31, v62, v31
	ds_write_b16 v54, v33
	ds_write_b16 v54, v32 offset:4
	v_fma_f16 v32, v62, 2.0, -v31
	ds_write_b16 v30, v32
	ds_write_b16 v30, v31 offset:4
	v_and_b32_e32 v30, 3, v7
	v_lshlrev_b32_e32 v31, 2, v30
	s_waitcnt lgkmcnt(0)
	; wave barrier
	s_waitcnt lgkmcnt(0)
	global_load_dword v31, v31, s[8:9] offset:8
	ds_read_u16 v32, v5 offset:1008
	ds_read_u16 v33, v5 offset:1120
	;; [unrolled: 1-line block ×7, first 2 shown]
	ds_read_u16 v39, v5
	s_movk_i32 s0, 0x78
	v_and_or_b32 v63, v27, s0, v30
	v_lshl_add_u32 v63, v63, 1, 0
	s_movk_i32 s0, 0xf8
	s_movk_i32 s1, 0x2f8
	s_waitcnt vmcnt(0)
	v_mul_f16_sdwa v43, v60, v31 dst_sel:DWORD dst_unused:UNUSED_PAD src0_sel:DWORD src1_sel:WORD_1
	s_waitcnt lgkmcnt(7)
	v_mul_f16_sdwa v42, v32, v31 dst_sel:DWORD dst_unused:UNUSED_PAD src0_sel:DWORD src1_sel:WORD_1
	v_fma_f16 v32, v32, v31, -v43
	s_waitcnt lgkmcnt(6)
	v_mul_f16_sdwa v43, v33, v31 dst_sel:DWORD dst_unused:UNUSED_PAD src0_sel:DWORD src1_sel:WORD_1
	v_mul_f16_sdwa v44, v61, v31 dst_sel:DWORD dst_unused:UNUSED_PAD src0_sel:DWORD src1_sel:WORD_1
	;; [unrolled: 1-line block ×7, first 2 shown]
	v_fma_f16 v42, v60, v31, v42
	v_fma_f16 v43, v61, v31, v43
	v_fma_f16 v33, v33, v31, -v44
	s_waitcnt lgkmcnt(5)
	v_mul_f16_sdwa v44, v34, v31 dst_sel:DWORD dst_unused:UNUSED_PAD src0_sel:DWORD src1_sel:WORD_1
	v_fma_f16 v34, v34, v31, -v45
	s_waitcnt lgkmcnt(4)
	v_mul_f16_sdwa v45, v35, v31 dst_sel:DWORD dst_unused:UNUSED_PAD src0_sel:DWORD src1_sel:WORD_1
	;; [unrolled: 3-line block ×5, first 2 shown]
	v_fma_f16 v38, v38, v31, -v49
	ds_read_u16 v49, v5 offset:1792
	ds_read_u16 v50, v5 offset:1904
	ds_read_u16 v51, v17
	ds_read_u16 v52, v18
	;; [unrolled: 1-line block ×6, first 2 shown]
	v_mul_f16_sdwa v61, v69, v31 dst_sel:DWORD dst_unused:UNUSED_PAD src0_sel:DWORD src1_sel:WORD_1
	s_waitcnt lgkmcnt(7)
	v_mul_f16_sdwa v60, v49, v31 dst_sel:DWORD dst_unused:UNUSED_PAD src0_sel:DWORD src1_sel:WORD_1
	v_fma_f16 v49, v49, v31, -v61
	s_waitcnt lgkmcnt(6)
	v_mul_f16_sdwa v61, v50, v31 dst_sel:DWORD dst_unused:UNUSED_PAD src0_sel:DWORD src1_sel:WORD_1
	v_mul_f16_sdwa v62, v74, v31 dst_sel:DWORD dst_unused:UNUSED_PAD src0_sel:DWORD src1_sel:WORD_1
	v_sub_f16_e32 v42, v57, v42
	v_fma_f16 v44, v64, v31, v44
	v_fma_f16 v45, v65, v31, v45
	;; [unrolled: 1-line block ×7, first 2 shown]
	v_fma_f16 v31, v50, v31, -v62
	v_fma_f16 v50, v57, 2.0, -v42
	ds_read_u16 v57, v28
	ds_read_u16 v62, v29
	s_waitcnt lgkmcnt(0)
	; wave barrier
	s_waitcnt lgkmcnt(0)
	ds_write_b16 v63, v50
	ds_write_b16 v63, v42 offset:8
	v_sub_f16_e32 v42, v73, v43
	v_and_or_b32 v50, v13, s0, v30
	v_fma_f16 v43, v73, 2.0, -v42
	v_lshl_add_u32 v50, v50, 1, 0
	s_movk_i32 s0, 0x1f8
	ds_write_b16 v50, v43
	ds_write_b16 v50, v42 offset:8
	v_sub_f16_e32 v42, v72, v44
	v_and_or_b32 v44, v15, s0, v30
	v_fma_f16 v43, v72, 2.0, -v42
	v_lshl_add_u32 v44, v44, 1, 0
	ds_write_b16 v44, v43
	ds_write_b16 v44, v42 offset:8
	v_sub_f16_e32 v42, v40, v45
	v_and_or_b32 v43, v26, s0, v30
	v_fma_f16 v40, v40, 2.0, -v42
	v_lshl_add_u32 v43, v43, 1, 0
	s_movk_i32 s0, 0x3f8
	ds_write_b16 v43, v40
	ds_write_b16 v43, v42 offset:8
	v_sub_f16_e32 v40, v41, v46
	v_and_or_b32 v42, v25, s0, v30
	v_fma_f16 v41, v41, 2.0, -v40
	v_lshl_add_u32 v42, v42, 1, 0
	ds_write_b16 v42, v41
	ds_write_b16 v42, v40 offset:8
	v_sub_f16_e32 v40, v55, v47
	v_and_or_b32 v45, v24, s1, v30
	v_fma_f16 v41, v55, 2.0, -v40
	v_lshl_add_u32 v45, v45, 1, 0
	;; [unrolled: 6-line block ×4, first 2 shown]
	ds_write_b16 v47, v41
	ds_write_b16 v47, v40 offset:8
	v_sub_f16_e32 v40, v71, v61
	v_and_or_b32 v30, v21, s0, v30
	v_sub_f16_e32 v32, v39, v32
	v_fma_f16 v41, v71, 2.0, -v40
	v_lshl_add_u32 v30, v30, 1, 0
	v_fma_f16 v39, v39, 2.0, -v32
	ds_write_b16 v30, v41
	ds_write_b16 v30, v40 offset:8
	s_waitcnt lgkmcnt(0)
	; wave barrier
	s_waitcnt lgkmcnt(0)
	ds_read_u16 v40, v17
	ds_read_u16 v41, v18
	;; [unrolled: 1-line block ×5, first 2 shown]
	ds_read_u16 v60, v5 offset:1008
	ds_read_u16 v61, v5 offset:1120
	;; [unrolled: 1-line block ×8, first 2 shown]
	ds_read_u16 v70, v28
	ds_read_u16 v71, v29
	;; [unrolled: 1-line block ×4, first 2 shown]
	ds_read_u16 v74, v5 offset:1904
	s_waitcnt lgkmcnt(0)
	; wave barrier
	s_waitcnt lgkmcnt(0)
	ds_write_b16 v63, v39
	ds_write_b16 v63, v32 offset:8
	v_sub_f16_e32 v32, v59, v33
	v_fma_f16 v33, v59, 2.0, -v32
	ds_write_b16 v50, v33
	ds_write_b16 v50, v32 offset:8
	v_sub_f16_e32 v32, v58, v34
	v_fma_f16 v33, v58, 2.0, -v32
	ds_write_b16 v44, v33
	ds_write_b16 v44, v32 offset:8
	v_sub_f16_e32 v32, v51, v35
	v_fma_f16 v33, v51, 2.0, -v32
	ds_write_b16 v43, v33
	ds_write_b16 v43, v32 offset:8
	v_sub_f16_e32 v32, v52, v36
	v_fma_f16 v33, v52, 2.0, -v32
	ds_write_b16 v42, v33
	ds_write_b16 v42, v32 offset:8
	v_sub_f16_e32 v32, v53, v37
	v_fma_f16 v33, v53, 2.0, -v32
	ds_write_b16 v45, v33
	ds_write_b16 v45, v32 offset:8
	v_sub_f16_e32 v32, v54, v38
	v_fma_f16 v33, v54, 2.0, -v32
	ds_write_b16 v46, v33
	ds_write_b16 v46, v32 offset:8
	v_sub_f16_e32 v32, v57, v49
	v_fma_f16 v33, v57, 2.0, -v32
	v_sub_f16_e32 v31, v62, v31
	ds_write_b16 v47, v33
	ds_write_b16 v47, v32 offset:8
	v_fma_f16 v32, v62, 2.0, -v31
	ds_write_b16 v30, v32
	ds_write_b16 v30, v31 offset:8
	v_and_b32_e32 v30, 7, v7
	v_lshlrev_b32_e32 v31, 2, v30
	s_waitcnt lgkmcnt(0)
	; wave barrier
	s_waitcnt lgkmcnt(0)
	global_load_dword v31, v31, s[8:9] offset:24
	ds_read_u16 v32, v5 offset:1008
	ds_read_u16 v33, v5 offset:1120
	;; [unrolled: 1-line block ×7, first 2 shown]
	ds_read_u16 v39, v5
	s_movk_i32 s0, 0x70
	v_and_or_b32 v27, v27, s0, v30
	v_lshl_add_u32 v27, v27, 1, 0
	s_movk_i32 s0, 0xf0
	s_movk_i32 s1, 0x2f0
	v_and_or_b32 v24, v24, s1, v30
	v_lshl_add_u32 v24, v24, 1, 0
	s_waitcnt vmcnt(0)
	v_mul_f16_sdwa v43, v60, v31 dst_sel:DWORD dst_unused:UNUSED_PAD src0_sel:DWORD src1_sel:WORD_1
	s_waitcnt lgkmcnt(7)
	v_mul_f16_sdwa v42, v32, v31 dst_sel:DWORD dst_unused:UNUSED_PAD src0_sel:DWORD src1_sel:WORD_1
	v_fma_f16 v32, v32, v31, -v43
	s_waitcnt lgkmcnt(6)
	v_mul_f16_sdwa v43, v33, v31 dst_sel:DWORD dst_unused:UNUSED_PAD src0_sel:DWORD src1_sel:WORD_1
	v_mul_f16_sdwa v44, v61, v31 dst_sel:DWORD dst_unused:UNUSED_PAD src0_sel:DWORD src1_sel:WORD_1
	;; [unrolled: 1-line block ×7, first 2 shown]
	v_fma_f16 v42, v60, v31, v42
	v_fma_f16 v43, v61, v31, v43
	v_fma_f16 v33, v33, v31, -v44
	s_waitcnt lgkmcnt(5)
	v_mul_f16_sdwa v44, v34, v31 dst_sel:DWORD dst_unused:UNUSED_PAD src0_sel:DWORD src1_sel:WORD_1
	v_fma_f16 v34, v34, v31, -v45
	s_waitcnt lgkmcnt(4)
	v_mul_f16_sdwa v45, v35, v31 dst_sel:DWORD dst_unused:UNUSED_PAD src0_sel:DWORD src1_sel:WORD_1
	;; [unrolled: 3-line block ×5, first 2 shown]
	v_fma_f16 v38, v38, v31, -v50
	ds_read_u16 v50, v5 offset:1792
	ds_read_u16 v51, v5 offset:1904
	ds_read_u16 v52, v17
	ds_read_u16 v53, v18
	;; [unrolled: 1-line block ×6, first 2 shown]
	v_mul_f16_sdwa v61, v69, v31 dst_sel:DWORD dst_unused:UNUSED_PAD src0_sel:DWORD src1_sel:WORD_1
	s_waitcnt lgkmcnt(7)
	v_mul_f16_sdwa v60, v50, v31 dst_sel:DWORD dst_unused:UNUSED_PAD src0_sel:DWORD src1_sel:WORD_1
	v_fma_f16 v50, v50, v31, -v61
	s_waitcnt lgkmcnt(6)
	v_mul_f16_sdwa v61, v51, v31 dst_sel:DWORD dst_unused:UNUSED_PAD src0_sel:DWORD src1_sel:WORD_1
	v_mul_f16_sdwa v62, v74, v31 dst_sel:DWORD dst_unused:UNUSED_PAD src0_sel:DWORD src1_sel:WORD_1
	v_sub_f16_e32 v42, v56, v42
	v_fma_f16 v44, v64, v31, v44
	v_fma_f16 v45, v65, v31, v45
	;; [unrolled: 1-line block ×7, first 2 shown]
	v_fma_f16 v31, v51, v31, -v62
	v_fma_f16 v51, v56, 2.0, -v42
	ds_read_u16 v28, v28
	ds_read_u16 v29, v29
	s_waitcnt lgkmcnt(0)
	; wave barrier
	s_waitcnt lgkmcnt(0)
	ds_write_b16 v27, v51
	ds_write_b16 v27, v42 offset:16
	v_sub_f16_e32 v42, v73, v43
	v_and_or_b32 v51, v13, s0, v30
	v_fma_f16 v43, v73, 2.0, -v42
	v_lshl_add_u32 v51, v51, 1, 0
	s_movk_i32 s0, 0x1f0
	ds_write_b16 v51, v43
	ds_write_b16 v51, v42 offset:16
	v_sub_f16_e32 v42, v72, v44
	v_and_or_b32 v44, v15, s0, v30
	v_fma_f16 v43, v72, 2.0, -v42
	v_lshl_add_u32 v44, v44, 1, 0
	ds_write_b16 v44, v43
	ds_write_b16 v44, v42 offset:16
	v_sub_f16_e32 v42, v40, v45
	v_and_or_b32 v26, v26, s0, v30
	v_fma_f16 v40, v40, 2.0, -v42
	v_lshl_add_u32 v26, v26, 1, 0
	s_movk_i32 s0, 0x3f0
	ds_write_b16 v26, v40
	ds_write_b16 v26, v42 offset:16
	v_sub_f16_e32 v40, v41, v46
	v_and_or_b32 v25, v25, s0, v30
	v_fma_f16 v41, v41, 2.0, -v40
	v_lshl_add_u32 v25, v25, 1, 0
	ds_write_b16 v25, v41
	ds_write_b16 v25, v40 offset:16
	v_sub_f16_e32 v40, v48, v47
	v_fma_f16 v41, v48, 2.0, -v40
	ds_write_b16 v24, v41
	ds_write_b16 v24, v40 offset:16
	v_sub_f16_e32 v40, v55, v49
	v_and_or_b32 v23, v23, s0, v30
	v_fma_f16 v41, v55, 2.0, -v40
	v_lshl_add_u32 v23, v23, 1, 0
	ds_write_b16 v23, v41
	ds_write_b16 v23, v40 offset:16
	v_sub_f16_e32 v40, v70, v60
	v_and_or_b32 v22, v22, s0, v30
	v_fma_f16 v41, v70, 2.0, -v40
	v_lshl_add_u32 v22, v22, 1, 0
	v_and_or_b32 v21, v21, s0, v30
	v_sub_f16_e32 v30, v71, v61
	ds_write_b16 v22, v41
	ds_write_b16 v22, v40 offset:16
	v_fma_f16 v40, v71, 2.0, -v30
	v_lshl_add_u32 v21, v21, 1, 0
	ds_write_b16 v21, v40
	ds_write_b16 v21, v30 offset:16
	v_sub_f16_e32 v30, v39, v32
	v_fma_f16 v32, v39, 2.0, -v30
	s_waitcnt lgkmcnt(0)
	; wave barrier
	s_waitcnt lgkmcnt(0)
	ds_read_u16 v39, v17
	ds_read_u16 v40, v18
	;; [unrolled: 1-line block ×3, first 2 shown]
	ds_read_u16 v42, v5 offset:784
	ds_read_u16 v43, v5 offset:896
	;; [unrolled: 1-line block ×7, first 2 shown]
	ds_read_u16 v55, v20
	ds_read_u16 v56, v19
	ds_read_u16 v60, v5 offset:1456
	ds_read_u16 v61, v5 offset:1344
	;; [unrolled: 1-line block ×3, first 2 shown]
	ds_read_u16 v63, v16
	ds_read_u16 v64, v14
	ds_read_u16 v65, v5 offset:1904
	s_waitcnt lgkmcnt(0)
	; wave barrier
	s_waitcnt lgkmcnt(0)
	ds_write_b16 v27, v32
	ds_write_b16 v27, v30 offset:16
	v_sub_f16_e32 v27, v59, v33
	v_fma_f16 v30, v59, 2.0, -v27
	ds_write_b16 v51, v30
	ds_write_b16 v51, v27 offset:16
	v_sub_f16_e32 v27, v58, v34
	v_fma_f16 v30, v58, 2.0, -v27
	;; [unrolled: 4-line block ×5, first 2 shown]
	ds_write_b16 v24, v26
	ds_write_b16 v24, v25 offset:16
	v_sub_f16_e32 v26, v28, v50
	v_sub_f16_e32 v24, v57, v38
	v_fma_f16 v27, v28, 2.0, -v26
	v_sub_f16_e32 v28, v29, v31
	v_fma_f16 v25, v57, 2.0, -v24
	v_fma_f16 v29, v29, 2.0, -v28
	ds_write_b16 v23, v25
	ds_write_b16 v23, v24 offset:16
	ds_write_b16 v22, v27
	ds_write_b16 v22, v26 offset:16
	;; [unrolled: 2-line block ×3, first 2 shown]
	v_and_b32_e32 v29, 15, v9
	v_lshlrev_b32_e32 v21, 3, v29
	s_waitcnt lgkmcnt(0)
	; wave barrier
	s_waitcnt lgkmcnt(0)
	global_load_dwordx2 v[21:22], v21, s[8:9] offset:56
	v_and_b32_e32 v30, 15, v12
	v_lshlrev_b32_e32 v23, 3, v30
	global_load_dwordx2 v[23:24], v23, s[8:9] offset:56
	v_and_b32_e32 v33, 15, v11
	v_and_b32_e32 v31, 15, v7
	v_lshlrev_b32_e32 v34, 3, v33
	v_lshlrev_b32_e32 v32, 3, v31
	global_load_dwordx2 v[25:26], v34, s[8:9] offset:56
	global_load_dwordx2 v[27:28], v32, s[8:9] offset:56
	ds_read_u16 v32, v5 offset:784
	ds_read_u16 v34, v5 offset:896
	;; [unrolled: 1-line block ×7, first 2 shown]
	ds_read_u16 v50, v5
	v_lshrrev_b32_e32 v72, 4, v9
	v_mul_lo_u32 v72, v72, 48
	v_cmp_gt_u32_e64 s[0:1], 48, v7
	v_or_b32_e32 v29, v72, v29
	v_lshl_add_u32 v29, v29, 1, 0
	s_waitcnt vmcnt(3) lgkmcnt(7)
	v_mul_f16_sdwa v51, v32, v21 dst_sel:DWORD dst_unused:UNUSED_PAD src0_sel:DWORD src1_sel:WORD_1
	v_fma_f16 v51, v42, v21, v51
	v_mul_f16_sdwa v42, v42, v21 dst_sel:DWORD dst_unused:UNUSED_PAD src0_sel:DWORD src1_sel:WORD_1
	v_fma_f16 v32, v32, v21, -v42
	s_waitcnt lgkmcnt(3)
	v_mul_f16_sdwa v21, v37, v22 dst_sel:DWORD dst_unused:UNUSED_PAD src0_sel:DWORD src1_sel:WORD_1
	v_fma_f16 v42, v60, v22, v21
	v_mul_f16_sdwa v21, v60, v22 dst_sel:DWORD dst_unused:UNUSED_PAD src0_sel:DWORD src1_sel:WORD_1
	v_fma_f16 v22, v37, v22, -v21
	s_waitcnt vmcnt(2)
	v_mul_f16_sdwa v21, v35, v23 dst_sel:DWORD dst_unused:UNUSED_PAD src0_sel:DWORD src1_sel:WORD_1
	v_fma_f16 v37, v45, v23, v21
	v_mul_f16_sdwa v21, v45, v23 dst_sel:DWORD dst_unused:UNUSED_PAD src0_sel:DWORD src1_sel:WORD_1
	v_fma_f16 v23, v35, v23, -v21
	ds_read_u16 v21, v5 offset:1680
	ds_read_u16 v35, v5 offset:1792
	;; [unrolled: 1-line block ×3, first 2 shown]
	ds_read_u16 v52, v17
	ds_read_u16 v53, v18
	ds_read_u16 v54, v16
	ds_read_u16 v57, v14
	ds_read_u16 v58, v5 offset:1568
	ds_read_u16 v60, v20
	s_waitcnt lgkmcnt(8)
	v_mul_f16_sdwa v59, v21, v24 dst_sel:DWORD dst_unused:UNUSED_PAD src0_sel:DWORD src1_sel:WORD_1
	v_fma_f16 v59, v48, v24, v59
	v_mul_f16_sdwa v48, v48, v24 dst_sel:DWORD dst_unused:UNUSED_PAD src0_sel:DWORD src1_sel:WORD_1
	v_fma_f16 v24, v21, v24, -v48
	ds_read_u16 v48, v19
	s_waitcnt vmcnt(0) lgkmcnt(1)
	v_mul_f16_sdwa v21, v60, v27 dst_sel:DWORD dst_unused:UNUSED_PAD src0_sel:DWORD src1_sel:WORD_1
	v_fma_f16 v21, v55, v27, v21
	v_mul_f16_sdwa v55, v55, v27 dst_sel:DWORD dst_unused:UNUSED_PAD src0_sel:DWORD src1_sel:WORD_1
	v_fma_f16 v55, v60, v27, -v55
	v_mul_f16_sdwa v60, v38, v28 dst_sel:DWORD dst_unused:UNUSED_PAD src0_sel:DWORD src1_sel:WORD_1
	v_fma_f16 v60, v61, v28, v60
	v_mul_f16_sdwa v61, v61, v28 dst_sel:DWORD dst_unused:UNUSED_PAD src0_sel:DWORD src1_sel:WORD_1
	v_fma_f16 v38, v38, v28, -v61
	;; [unrolled: 4-line block ×5, first 2 shown]
	v_mul_f16_sdwa v36, v35, v28 dst_sel:DWORD dst_unused:UNUSED_PAD src0_sel:DWORD src1_sel:WORD_1
	v_mul_f16_sdwa v46, v49, v28 dst_sel:DWORD dst_unused:UNUSED_PAD src0_sel:DWORD src1_sel:WORD_1
	v_fma_f16 v36, v49, v28, v36
	v_fma_f16 v28, v35, v28, -v46
	v_mul_f16_sdwa v35, v44, v25 dst_sel:DWORD dst_unused:UNUSED_PAD src0_sel:DWORD src1_sel:WORD_1
	v_mul_f16_sdwa v46, v62, v25 dst_sel:DWORD dst_unused:UNUSED_PAD src0_sel:DWORD src1_sel:WORD_1
	v_fma_f16 v35, v62, v25, v35
	v_fma_f16 v25, v44, v25, -v46
	;; [unrolled: 4-line block ×3, first 2 shown]
	v_add_f16_e32 v45, v21, v60
	v_fma_f16 v45, v45, -0.5, v41
	v_sub_f16_e32 v46, v55, v38
	v_fma_f16 v49, v46, s10, v45
	v_fma_f16 v45, v46, s11, v45
	v_add_f16_e32 v46, v50, v55
	v_add_f16_e32 v46, v46, v38
	;; [unrolled: 1-line block ×3, first 2 shown]
	v_fma_f16 v38, v38, -0.5, v50
	v_add_f16_e32 v41, v41, v21
	v_sub_f16_e32 v21, v21, v60
	v_fma_f16 v50, v21, s11, v38
	v_fma_f16 v38, v21, s10, v38
	v_add_f16_e32 v21, v51, v42
	v_fma_f16 v21, v21, -0.5, v64
	v_sub_f16_e32 v55, v32, v22
	v_add_f16_e32 v41, v41, v60
	v_fma_f16 v60, v55, s10, v21
	v_fma_f16 v21, v55, s11, v21
	v_add_f16_e32 v55, v61, v43
	v_fma_f16 v55, v55, -0.5, v63
	v_sub_f16_e32 v62, v34, v47
	v_fma_f16 v65, v62, s10, v55
	v_fma_f16 v55, v62, s11, v55
	v_add_f16_e32 v62, v37, v59
	v_fma_f16 v62, v62, -0.5, v39
	v_sub_f16_e32 v66, v23, v24
	;; [unrolled: 5-line block ×4, first 2 shown]
	v_fma_f16 v71, v70, s10, v68
	v_fma_f16 v68, v70, s11, v68
	v_lshrrev_b32_e32 v70, 4, v7
	v_mul_u32_u24_e32 v70, 48, v70
	v_or_b32_e32 v70, v70, v31
	v_lshl_add_u32 v70, v70, 1, 0
	s_waitcnt lgkmcnt(0)
	; wave barrier
	s_waitcnt lgkmcnt(0)
	ds_write_b16 v70, v41
	ds_write_b16 v70, v49 offset:32
	ds_write_b16 v70, v45 offset:64
	v_add_f16_e32 v41, v64, v51
	v_add_f16_e32 v41, v41, v42
	ds_write_b16 v29, v41
	ds_write_b16 v29, v60 offset:32
	v_lshrrev_b32_e32 v41, 4, v8
	v_mul_lo_u32 v41, v41, 48
	v_lshrrev_b32_e32 v45, 4, v12
	v_mul_lo_u32 v45, v45, 48
	ds_write_b16 v29, v21 offset:64
	v_add_f16_e32 v21, v63, v61
	v_or_b32_e32 v41, v41, v31
	v_add_f16_e32 v21, v21, v43
	v_lshl_add_u32 v41, v41, 1, 0
	ds_write_b16 v41, v21
	ds_write_b16 v41, v65 offset:32
	ds_write_b16 v41, v55 offset:64
	v_or_b32_e32 v21, v45, v30
	v_add_f16_e32 v30, v39, v37
	v_lshl_add_u32 v39, v21, 1, 0
	v_lshrrev_b32_e32 v21, 4, v10
	v_mul_lo_u32 v21, v21, 48
	v_add_f16_e32 v30, v30, v59
	ds_write_b16 v39, v30
	ds_write_b16 v39, v67 offset:32
	ds_write_b16 v39, v62 offset:64
	v_add_f16_e32 v30, v40, v58
	v_or_b32_e32 v21, v21, v31
	v_lshl_add_u32 v31, v21, 1, 0
	v_lshrrev_b32_e32 v21, 4, v11
	v_mul_lo_u32 v21, v21, 48
	v_add_f16_e32 v30, v30, v36
	ds_write_b16 v31, v30
	ds_write_b16 v31, v69 offset:32
	ds_write_b16 v31, v66 offset:64
	v_add_f16_e32 v30, v56, v35
	v_or_b32_e32 v21, v21, v33
	v_add_f16_e32 v30, v30, v44
	v_lshl_add_u32 v33, v21, 1, 0
	ds_write_b16 v33, v30
	ds_write_b16 v33, v71 offset:32
	ds_write_b16 v33, v68 offset:64
	s_waitcnt lgkmcnt(0)
	; wave barrier
	s_waitcnt lgkmcnt(0)
	ds_read_u16 v30, v17
	ds_read_u16 v40, v18
	;; [unrolled: 1-line block ×3, first 2 shown]
	ds_read_u16 v49, v5 offset:784
	ds_read_u16 v55, v5 offset:896
	;; [unrolled: 1-line block ×7, first 2 shown]
	ds_read_u16 v45, v20
	ds_read_u16 v21, v19
	ds_read_u16 v60, v5 offset:1456
	ds_read_u16 v67, v5 offset:1344
	;; [unrolled: 1-line block ×3, first 2 shown]
	ds_read_u16 v69, v16
	ds_read_u16 v71, v14
	ds_read_u16 v72, v5 offset:1904
	s_waitcnt lgkmcnt(0)
	; wave barrier
	s_waitcnt lgkmcnt(0)
	ds_write_b16 v70, v46
	ds_write_b16 v70, v50 offset:32
	ds_write_b16 v70, v38 offset:64
	v_add_f16_e32 v38, v57, v32
	v_add_f16_e32 v38, v38, v22
	v_add_f16_e32 v22, v32, v22
	v_fma_f16 v22, v22, -0.5, v57
	v_sub_f16_e32 v32, v51, v42
	v_fma_f16 v42, v32, s11, v22
	v_fma_f16 v22, v32, s10, v22
	ds_write_b16 v29, v38
	ds_write_b16 v29, v42 offset:32
	ds_write_b16 v29, v22 offset:64
	v_add_f16_e32 v22, v54, v34
	v_add_f16_e32 v29, v34, v47
	v_add_f16_e32 v22, v22, v47
	v_fma_f16 v29, v29, -0.5, v54
	v_sub_f16_e32 v32, v61, v43
	v_fma_f16 v34, v32, s11, v29
	v_fma_f16 v29, v32, s10, v29
	;; [unrolled: 10-line block ×3, first 2 shown]
	ds_write_b16 v39, v22
	ds_write_b16 v39, v29 offset:32
	ds_write_b16 v39, v23 offset:64
	v_add_f16_e32 v23, v27, v28
	v_fma_f16 v23, v23, -0.5, v53
	v_sub_f16_e32 v24, v58, v36
	v_add_f16_e32 v22, v53, v27
	v_fma_f16 v27, v24, s11, v23
	v_fma_f16 v23, v24, s10, v23
	v_add_f16_e32 v24, v48, v25
	v_add_f16_e32 v25, v25, v26
	;; [unrolled: 1-line block ×4, first 2 shown]
	v_fma_f16 v25, v25, -0.5, v48
	v_sub_f16_e32 v26, v35, v44
	v_fma_f16 v28, v26, s11, v25
	v_fma_f16 v25, v26, s10, v25
	ds_write_b16 v31, v22
	ds_write_b16 v31, v27 offset:32
	ds_write_b16 v31, v23 offset:64
	ds_write_b16 v33, v24
	ds_write_b16 v33, v28 offset:32
	ds_write_b16 v33, v25 offset:64
	v_subrev_u32_e32 v22, 48, v7
	v_cndmask_b32_e64 v22, v22, v7, s[0:1]
	v_lshlrev_b32_e32 v23, 1, v22
	v_mov_b32_e32 v24, 0
	v_lshlrev_b64 v[24:25], 2, v[23:24]
	v_mov_b32_e32 v22, s9
	v_add_co_u32_e64 v24, s[0:1], s8, v24
	v_addc_co_u32_e64 v25, s[0:1], v22, v25, s[0:1]
	s_waitcnt lgkmcnt(0)
	; wave barrier
	s_waitcnt lgkmcnt(0)
	global_load_dwordx2 v[24:25], v[24:25], off offset:184
	s_movk_i32 s0, 0xab
	v_mul_lo_u16_sdwa v22, v9, s0 dst_sel:DWORD dst_unused:UNUSED_PAD src0_sel:BYTE_0 src1_sel:DWORD
	v_lshrrev_b16_e32 v39, 13, v22
	v_mul_lo_u16_e32 v22, 48, v39
	v_sub_u16_e32 v70, v9, v22
	v_mov_b32_e32 v22, 3
	v_lshlrev_b32_sdwa v26, v22, v70 dst_sel:DWORD dst_unused:UNUSED_PAD src0_sel:DWORD src1_sel:BYTE_0
	v_mul_lo_u16_sdwa v28, v8, s0 dst_sel:DWORD dst_unused:UNUSED_PAD src0_sel:BYTE_0 src1_sel:DWORD
	global_load_dwordx2 v[26:27], v26, s[8:9] offset:184
	v_lshrrev_b16_e32 v73, 13, v28
	v_mul_lo_u16_e32 v28, 48, v73
	v_mul_lo_u16_sdwa v31, v12, s0 dst_sel:DWORD dst_unused:UNUSED_PAD src0_sel:BYTE_0 src1_sel:DWORD
	v_sub_u16_e32 v74, v8, v28
	v_lshrrev_b16_e32 v75, 13, v31
	v_lshlrev_b32_sdwa v28, v22, v74 dst_sel:DWORD dst_unused:UNUSED_PAD src0_sel:DWORD src1_sel:BYTE_0
	v_mul_lo_u16_e32 v31, 48, v75
	global_load_dwordx2 v[28:29], v28, s[8:9] offset:184
	v_sub_u16_e32 v12, v12, v31
	v_lshlrev_b32_sdwa v22, v22, v12 dst_sel:DWORD dst_unused:UNUSED_PAD src0_sel:DWORD src1_sel:BYTE_0
	s_mov_b32 s0, 0xaaab
	global_load_dwordx2 v[32:33], v22, s[8:9] offset:184
	v_mul_u32_u24_sdwa v22, v10, s0 dst_sel:DWORD dst_unused:UNUSED_PAD src0_sel:WORD_0 src1_sel:DWORD
	v_lshrrev_b32_e32 v76, 21, v22
	v_mul_lo_u16_e32 v22, 48, v76
	v_sub_u16_e32 v77, v10, v22
	v_lshlrev_b32_e32 v10, 3, v77
	global_load_dwordx2 v[37:38], v10, s[8:9] offset:184
	v_mul_u32_u24_sdwa v10, v11, s0 dst_sel:DWORD dst_unused:UNUSED_PAD src0_sel:WORD_0 src1_sel:DWORD
	v_lshrrev_b32_e32 v78, 21, v10
	v_mul_lo_u16_e32 v10, 48, v78
	v_sub_u16_e32 v79, v11, v10
	v_lshlrev_b32_e32 v10, 3, v79
	global_load_dwordx2 v[10:11], v10, s[8:9] offset:184
	ds_read_u16 v22, v20
	ds_read_u16 v20, v19
	v_cmp_lt_u32_e64 s[0:1], 47, v7
	s_waitcnt vmcnt(5) lgkmcnt(1)
	v_mul_f16_sdwa v19, v22, v24 dst_sel:DWORD dst_unused:UNUSED_PAD src0_sel:DWORD src1_sel:WORD_1
	v_mul_f16_sdwa v31, v45, v24 dst_sel:DWORD dst_unused:UNUSED_PAD src0_sel:DWORD src1_sel:WORD_1
	v_fma_f16 v19, v45, v24, v19
	v_fma_f16 v22, v22, v24, -v31
	ds_read_u16 v24, v5 offset:1344
	ds_read_u16 v36, v5 offset:1456
	;; [unrolled: 1-line block ×7, first 2 shown]
	ds_read_u16 v45, v5
	v_mul_f16_sdwa v34, v67, v25 dst_sel:DWORD dst_unused:UNUSED_PAD src0_sel:DWORD src1_sel:WORD_1
	s_waitcnt lgkmcnt(7)
	v_mul_f16_sdwa v31, v24, v25 dst_sel:DWORD dst_unused:UNUSED_PAD src0_sel:DWORD src1_sel:WORD_1
	v_fma_f16 v34, v24, v25, -v34
	s_waitcnt vmcnt(4) lgkmcnt(1)
	v_mul_f16_sdwa v24, v42, v26 dst_sel:DWORD dst_unused:UNUSED_PAD src0_sel:DWORD src1_sel:WORD_1
	v_fma_f16 v35, v49, v26, v24
	v_mul_f16_sdwa v24, v49, v26 dst_sel:DWORD dst_unused:UNUSED_PAD src0_sel:DWORD src1_sel:WORD_1
	v_fma_f16 v42, v42, v26, -v24
	v_mul_f16_sdwa v24, v36, v27 dst_sel:DWORD dst_unused:UNUSED_PAD src0_sel:DWORD src1_sel:WORD_1
	v_fma_f16 v43, v60, v27, v24
	v_mul_f16_sdwa v24, v60, v27 dst_sel:DWORD dst_unused:UNUSED_PAD src0_sel:DWORD src1_sel:WORD_1
	v_fma_f16 v46, v36, v27, -v24
	s_waitcnt vmcnt(3)
	v_mul_f16_sdwa v24, v41, v28 dst_sel:DWORD dst_unused:UNUSED_PAD src0_sel:DWORD src1_sel:WORD_1
	v_fma_f16 v36, v55, v28, v24
	v_mul_f16_sdwa v24, v55, v28 dst_sel:DWORD dst_unused:UNUSED_PAD src0_sel:DWORD src1_sel:WORD_1
	v_fma_f16 v31, v67, v25, v31
	v_fma_f16 v44, v41, v28, -v24
	ds_read_u16 v24, v5 offset:1568
	ds_read_u16 v25, v5 offset:1680
	;; [unrolled: 1-line block ×4, first 2 shown]
	ds_read_u16 v41, v17
	ds_read_u16 v17, v18
	;; [unrolled: 1-line block ×4, first 2 shown]
	s_waitcnt lgkmcnt(7)
	v_mul_f16_sdwa v16, v24, v29 dst_sel:DWORD dst_unused:UNUSED_PAD src0_sel:DWORD src1_sel:WORD_1
	v_fma_f16 v50, v64, v29, v16
	v_mul_f16_sdwa v16, v64, v29 dst_sel:DWORD dst_unused:UNUSED_PAD src0_sel:DWORD src1_sel:WORD_1
	v_fma_f16 v58, v24, v29, -v16
	s_waitcnt vmcnt(2)
	v_mul_f16_sdwa v16, v48, v32 dst_sel:DWORD dst_unused:UNUSED_PAD src0_sel:DWORD src1_sel:WORD_1
	v_fma_f16 v18, v56, v32, v16
	v_mul_f16_sdwa v16, v56, v32 dst_sel:DWORD dst_unused:UNUSED_PAD src0_sel:DWORD src1_sel:WORD_1
	v_fma_f16 v51, v48, v32, -v16
	s_waitcnt lgkmcnt(6)
	v_mul_f16_sdwa v16, v25, v33 dst_sel:DWORD dst_unused:UNUSED_PAD src0_sel:DWORD src1_sel:WORD_1
	v_fma_f16 v52, v65, v33, v16
	v_mul_f16_sdwa v16, v65, v33 dst_sel:DWORD dst_unused:UNUSED_PAD src0_sel:DWORD src1_sel:WORD_1
	v_fma_f16 v59, v25, v33, -v16
	s_waitcnt vmcnt(1)
	v_mul_f16_sdwa v16, v53, v37 dst_sel:DWORD dst_unused:UNUSED_PAD src0_sel:DWORD src1_sel:WORD_1
	v_fma_f16 v48, v62, v37, v16
	v_mul_f16_sdwa v16, v62, v37 dst_sel:DWORD dst_unused:UNUSED_PAD src0_sel:DWORD src1_sel:WORD_1
	v_fma_f16 v54, v53, v37, -v16
	;; [unrolled: 10-line block ×3, first 2 shown]
	s_waitcnt lgkmcnt(4)
	v_mul_f16_sdwa v10, v27, v11 dst_sel:DWORD dst_unused:UNUSED_PAD src0_sel:DWORD src1_sel:WORD_1
	v_fma_f16 v57, v72, v11, v10
	v_mul_f16_sdwa v10, v72, v11 dst_sel:DWORD dst_unused:UNUSED_PAD src0_sel:DWORD src1_sel:WORD_1
	v_fma_f16 v62, v27, v11, -v10
	v_mov_b32_e32 v10, 0x120
	v_cndmask_b32_e64 v10, 0, v10, s[0:1]
	v_add3_u32 v53, 0, v10, v23
	v_mov_b32_e32 v10, 1
	v_lshlrev_b32_sdwa v16, v10, v70 dst_sel:DWORD dst_unused:UNUSED_PAD src0_sel:DWORD src1_sel:BYTE_0
	v_lshlrev_b32_sdwa v23, v10, v74 dst_sel:DWORD dst_unused:UNUSED_PAD src0_sel:DWORD src1_sel:BYTE_0
	;; [unrolled: 1-line block ×3, first 2 shown]
	v_add_f16_e32 v10, v19, v31
	v_fma_f16 v10, v10, -0.5, v63
	v_sub_f16_e32 v11, v22, v34
	v_fma_f16 v25, v11, s10, v10
	v_fma_f16 v26, v11, s11, v10
	v_add_f16_e32 v10, v35, v43
	v_fma_f16 v10, v10, -0.5, v71
	v_sub_f16_e32 v11, v42, v46
	v_fma_f16 v27, v11, s10, v10
	v_fma_f16 v28, v11, s11, v10
	;; [unrolled: 5-line block ×3, first 2 shown]
	v_add_f16_e32 v10, v18, v52
	v_add_f16_e32 v63, v63, v19
	v_fma_f16 v10, v10, -0.5, v30
	v_sub_f16_e32 v11, v51, v59
	v_add_f16_e32 v63, v63, v31
	v_fma_f16 v33, v11, s10, v10
	v_fma_f16 v37, v11, s11, v10
	v_add_f16_e32 v10, v48, v55
	s_waitcnt lgkmcnt(0)
	; wave barrier
	s_waitcnt lgkmcnt(0)
	ds_write_b16 v53, v63
	ds_write_b16 v53, v25 offset:96
	ds_write_b16 v53, v26 offset:192
	v_mul_u32_u24_e32 v25, 0x120, v39
	v_fma_f16 v10, v10, -0.5, v40
	v_sub_f16_e32 v11, v54, v61
	v_add3_u32 v63, 0, v25, v16
	v_add_f16_e32 v16, v71, v35
	v_fma_f16 v38, v11, s10, v10
	v_fma_f16 v10, v11, s11, v10
	v_add_f16_e32 v11, v49, v57
	v_add_f16_e32 v16, v16, v43
	v_fma_f16 v12, v11, -0.5, v21
	v_sub_f16_e32 v64, v56, v62
	ds_write_b16 v63, v16
	ds_write_b16 v63, v27 offset:96
	ds_write_b16 v63, v28 offset:192
	v_mul_u32_u24_e32 v16, 0x120, v73
	v_fma_f16 v11, v64, s10, v12
	v_fma_f16 v12, v64, s11, v12
	v_add3_u32 v64, 0, v16, v23
	v_add_f16_e32 v16, v69, v36
	v_add_f16_e32 v16, v16, v50
	ds_write_b16 v64, v16
	ds_write_b16 v64, v29 offset:96
	ds_write_b16 v64, v32 offset:192
	v_mul_u32_u24_e32 v16, 0x120, v75
	v_add3_u32 v65, 0, v16, v24
	v_add_f16_e32 v16, v30, v18
	v_add_f16_e32 v16, v16, v52
	ds_write_b16 v65, v16
	ds_write_b16 v65, v33 offset:96
	ds_write_b16 v65, v37 offset:192
	v_lshlrev_b32_e32 v16, 1, v77
	v_mul_u32_u24_e32 v23, 0x120, v76
	v_add3_u32 v66, 0, v23, v16
	v_add_f16_e32 v16, v40, v48
	v_add_f16_e32 v16, v16, v55
	ds_write_b16 v66, v16
	ds_write_b16 v66, v38 offset:96
	v_lshlrev_b32_e32 v16, 1, v79
	v_mul_u32_u24_e32 v23, 0x120, v78
	v_add3_u32 v67, 0, v23, v16
	v_sub_u32_e32 v16, 0, v15
	v_add_f16_e32 v15, v21, v49
	v_add_f16_e32 v15, v15, v57
	ds_write_b16 v66, v10 offset:192
	ds_write_b16 v67, v15
	ds_write_b16 v67, v11 offset:96
	ds_write_b16 v67, v12 offset:192
	s_waitcnt lgkmcnt(0)
	; wave barrier
	s_waitcnt lgkmcnt(0)
	ds_read_u16 v23, v5
	ds_read_u16 v26, v5 offset:288
	ds_read_u16 v25, v5 offset:1152
	;; [unrolled: 1-line block ×7, first 2 shown]
	ds_read_u16 v30, v14
	ds_read_u16 v39, v5 offset:1840
	ds_read_u16 v29, v5 offset:1728
	;; [unrolled: 1-line block ×5, first 2 shown]
	v_add_u32_e32 v6, v6, v16
	v_sub_u32_e32 v21, 0, v13
	v_cmp_gt_u32_e64 s[0:1], 32, v7
	v_lshl_add_u32 v68, v7, 1, 0
                                        ; implicit-def: $vgpr13
                                        ; implicit-def: $vgpr14
                                        ; implicit-def: $vgpr16
	s_and_saveexec_b64 s[6:7], s[0:1]
	s_cbranch_execz .LBB0_15
; %bb.14:
	ds_read_u16 v11, v5 offset:800
	ds_read_u16 v13, v5 offset:1376
	;; [unrolled: 1-line block ×5, first 2 shown]
	ds_read_u16 v10, v6
	ds_read_u16 v14, v5 offset:1952
.LBB0_15:
	s_or_b64 exec, exec, s[6:7]
	v_add_f16_e32 v69, v45, v22
	v_add_f16_e32 v22, v22, v34
	v_fma_f16 v22, v22, -0.5, v45
	v_sub_f16_e32 v19, v19, v31
	v_fma_f16 v31, v19, s11, v22
	v_fma_f16 v22, v19, s10, v22
	v_add_f16_e32 v19, v60, v42
	v_add_f16_e32 v69, v69, v34
	v_add_f16_e32 v34, v19, v46
	v_add_f16_e32 v19, v42, v46
	v_fma_f16 v19, v19, -0.5, v60
	v_sub_f16_e32 v35, v35, v43
	v_fma_f16 v42, v35, s11, v19
	v_fma_f16 v35, v35, s10, v19
	v_add_f16_e32 v19, v47, v44
	v_add_f16_e32 v43, v19, v58
	v_add_f16_e32 v19, v44, v58
	v_fma_f16 v19, v19, -0.5, v47
	v_sub_f16_e32 v36, v36, v50
	v_fma_f16 v44, v36, s11, v19
	v_fma_f16 v36, v36, s10, v19
	v_add_f16_e32 v19, v41, v51
	v_add_f16_e32 v45, v19, v59
	v_add_f16_e32 v19, v51, v59
	;; [unrolled: 7-line block ×4, first 2 shown]
	v_fma_f16 v20, v18, -0.5, v20
	v_sub_f16_e32 v49, v49, v57
	v_fma_f16 v18, v49, s11, v20
	v_fma_f16 v20, v49, s10, v20
	s_waitcnt lgkmcnt(0)
	; wave barrier
	s_waitcnt lgkmcnt(0)
	ds_write_b16 v53, v69
	ds_write_b16 v53, v31 offset:96
	ds_write_b16 v53, v22 offset:192
	ds_write_b16 v63, v34
	ds_write_b16 v63, v42 offset:96
	ds_write_b16 v63, v35 offset:192
	;; [unrolled: 3-line block ×6, first 2 shown]
	s_waitcnt lgkmcnt(0)
	; wave barrier
	s_waitcnt lgkmcnt(0)
	ds_read_u16 v31, v5
	ds_read_u16 v34, v5 offset:288
	v_add_u32_e32 v0, v0, v21
	ds_read_u16 v36, v5 offset:1152
	ds_read_u16 v46, v5 offset:976
	ds_read_u16 v41, v5 offset:864
	ds_read_u16 v45, v5 offset:688
	ds_read_u16 v35, v5 offset:576
	ds_read_u16 v47, v5 offset:400
	ds_read_u16 v44, v0
	ds_read_u16 v49, v5 offset:1840
	ds_read_u16 v43, v5 offset:1728
	;; [unrolled: 1-line block ×5, first 2 shown]
                                        ; implicit-def: $vgpr0
                                        ; implicit-def: $vgpr21
                                        ; implicit-def: $vgpr22
	s_and_saveexec_b64 s[6:7], s[0:1]
	s_cbranch_execz .LBB0_17
; %bb.16:
	ds_read_u16 v18, v5 offset:800
	ds_read_u16 v0, v5 offset:1376
	;; [unrolled: 1-line block ×5, first 2 shown]
	ds_read_u16 v17, v6
	ds_read_u16 v21, v5 offset:1952
.LBB0_17:
	s_or_b64 exec, exec, s[6:7]
	s_and_saveexec_b64 s[6:7], vcc
	s_cbranch_execz .LBB0_20
; %bb.18:
	v_mul_i32_i24_e32 v5, 6, v9
	v_mov_b32_e32 v6, 0
	v_lshlrev_b64 v[51:52], 2, v[5:6]
	v_mov_b32_e32 v5, s9
	v_add_co_u32_e32 v55, vcc, s8, v51
	v_addc_co_u32_e32 v56, vcc, v5, v52, vcc
	global_load_dwordx4 v[51:54], v[55:56], off offset:568
	global_load_dwordx2 v[59:60], v[55:56], off offset:584
	v_mul_u32_u24_e32 v55, 6, v7
	v_lshlrev_b32_e32 v63, 2, v55
	global_load_dwordx4 v[55:58], v63, s[8:9] offset:568
	global_load_dwordx2 v[61:62], v63, s[8:9] offset:584
	v_mul_lo_u32 v5, s5, v3
	v_mul_lo_u32 v9, s4, v4
	v_mad_u64_u32 v[3:4], s[4:5], s4, v3, 0
	s_mov_b32 s5, 0xb574
	s_movk_i32 s11, 0x3574
	v_add3_u32 v4, v4, v9, v5
	s_mov_b32 s6, 0xbcab
	s_mov_b32 s10, 0xbb00
	;; [unrolled: 1-line block ×3, first 2 shown]
	s_movk_i32 s13, 0x39e0
	s_mov_b32 s4, 0xb70e
	s_movk_i32 s16, 0x3a52
	s_mov_b32 s17, 0x38e38e39
	v_lshlrev_b64 v[3:4], 2, v[3:4]
	v_lshlrev_b64 v[1:2], 2, v[1:2]
	s_movk_i32 s7, 0x2b26
	s_waitcnt vmcnt(3) lgkmcnt(6)
	v_mul_f16_sdwa v5, v47, v51 dst_sel:DWORD dst_unused:UNUSED_PAD src0_sel:DWORD src1_sel:WORD_1
	s_waitcnt lgkmcnt(0)
	v_mul_f16_sdwa v63, v50, v54 dst_sel:DWORD dst_unused:UNUSED_PAD src0_sel:DWORD src1_sel:WORD_1
	v_mul_f16_sdwa v64, v46, v53 dst_sel:DWORD dst_unused:UNUSED_PAD src0_sel:DWORD src1_sel:WORD_1
	;; [unrolled: 1-line block ×3, first 2 shown]
	s_waitcnt vmcnt(2)
	v_mul_f16_sdwa v66, v48, v59 dst_sel:DWORD dst_unused:UNUSED_PAD src0_sel:DWORD src1_sel:WORD_1
	v_mul_f16_sdwa v9, v49, v60 dst_sel:DWORD dst_unused:UNUSED_PAD src0_sel:DWORD src1_sel:WORD_1
	;; [unrolled: 1-line block ×8, first 2 shown]
	v_fma_f16 v5, v38, v51, v5
	v_fma_f16 v38, v40, v54, v63
	;; [unrolled: 1-line block ×6, first 2 shown]
	v_fma_f16 v39, v49, v60, -v67
	v_fma_f16 v40, v47, v51, -v68
	;; [unrolled: 1-line block ×5, first 2 shown]
	v_sub_f16_e32 v50, v38, v32
	v_sub_f16_e32 v51, v33, v37
	v_fma_f16 v46, v46, v53, -v69
	v_sub_f16_e32 v49, v5, v9
	v_add_f16_e32 v52, v40, v39
	v_add_f16_e32 v54, v45, v48
	;; [unrolled: 1-line block ×5, first 2 shown]
	v_sub_f16_e32 v38, v45, v48
	v_add_f16_e32 v45, v50, v51
	v_add_f16_e32 v53, v47, v46
	v_sub_f16_e32 v33, v40, v39
	v_sub_f16_e32 v37, v47, v46
	;; [unrolled: 1-line block ×4, first 2 shown]
	v_add_f16_e32 v48, v52, v54
	v_add_f16_e32 v60, v5, v32
	;; [unrolled: 1-line block ×3, first 2 shown]
	v_sub_f16_e32 v49, v51, v49
	v_sub_f16_e32 v46, v52, v53
	v_sub_f16_e32 v50, v5, v9
	v_sub_f16_e32 v59, v9, v32
	v_sub_f16_e32 v63, v33, v37
	v_sub_f16_e32 v64, v37, v38
	v_add_f16_e32 v37, v37, v38
	v_mul_f16_e32 v40, 0x3846, v40
	v_add_f16_e32 v48, v53, v48
	v_add_f16_e32 v9, v9, v60
	v_mul_f16_e32 v51, 0xbb00, v49
	v_sub_f16_e32 v47, v53, v54
	v_mul_f16_e32 v65, 0x3a52, v46
	v_mul_f16_e32 v53, 0x3a52, v50
	;; [unrolled: 1-line block ×4, first 2 shown]
	v_fma_f16 v64, v39, s5, v40
	v_add_f16_e32 v44, v44, v48
	v_add_f16_e32 v30, v30, v9
	;; [unrolled: 1-line block ×3, first 2 shown]
	v_fma_f16 v39, v39, s11, -v51
	v_sub_f16_e32 v51, v54, v52
	v_sub_f16_e32 v5, v32, v5
	;; [unrolled: 1-line block ×3, first 2 shown]
	v_fma_f16 v48, v48, s6, v44
	v_fma_f16 v9, v9, s6, v30
	v_fma_f16 v52, v51, s12, -v65
	v_fma_f16 v32, v5, s12, -v53
	v_mul_f16_e32 v38, 0xbb00, v33
	v_fma_f16 v33, v33, s10, -v60
	v_fma_f16 v5, v5, s13, -v59
	v_mul_f16_e32 v47, 0x2b26, v47
	v_fma_f16 v50, v50, s16, v59
	v_fma_f16 v66, v63, s5, v60
	;; [unrolled: 1-line block ×3, first 2 shown]
	v_add_f16_e32 v52, v52, v48
	v_fma_f16 v38, v63, s11, -v38
	v_fma_f16 v33, v37, s4, v33
	v_add_f16_e32 v5, v5, v9
	v_fma_f16 v46, v46, s16, v47
	v_add_f16_e32 v50, v50, v9
	;; [unrolled: 2-line block ×3, first 2 shown]
	v_add_f16_e32 v32, v32, v9
	v_fma_f16 v38, v37, s4, v38
	v_fma_f16 v47, v51, s13, -v47
	v_fma_f16 v40, v49, s10, -v40
	v_add_f16_e32 v37, v33, v5
	v_sub_f16_e32 v33, v5, v33
	v_sub_f16_e32 v39, v52, v39
	s_waitcnt vmcnt(1)
	v_mul_f16_sdwa v5, v34, v55 dst_sel:DWORD dst_unused:UNUSED_PAD src0_sel:DWORD src1_sel:WORD_1
	s_waitcnt vmcnt(0)
	v_mul_f16_sdwa v9, v43, v62 dst_sel:DWORD dst_unused:UNUSED_PAD src0_sel:DWORD src1_sel:WORD_1
	v_mul_f16_sdwa v52, v35, v56 dst_sel:DWORD dst_unused:UNUSED_PAD src0_sel:DWORD src1_sel:WORD_1
	;; [unrolled: 1-line block ×3, first 2 shown]
	v_add_f16_e32 v46, v46, v48
	v_add_f16_e32 v47, v47, v48
	v_fma_f16 v40, v45, s4, v40
	v_fma_f16 v5, v26, v55, v5
	;; [unrolled: 1-line block ×3, first 2 shown]
	v_mul_f16_sdwa v48, v36, v58 dst_sel:DWORD dst_unused:UNUSED_PAD src0_sel:DWORD src1_sel:WORD_1
	v_mul_f16_sdwa v49, v41, v57 dst_sel:DWORD dst_unused:UNUSED_PAD src0_sel:DWORD src1_sel:WORD_1
	v_fma_f16 v52, v24, v56, v52
	v_fma_f16 v59, v28, v61, v59
	;; [unrolled: 1-line block ×3, first 2 shown]
	v_sub_f16_e32 v45, v47, v40
	v_add_f16_e32 v40, v40, v47
	v_sub_f16_e32 v47, v5, v9
	v_fma_f16 v48, v25, v58, v48
	v_fma_f16 v49, v27, v57, v49
	v_sub_f16_e32 v60, v52, v59
	v_mul_f16_sdwa v27, v27, v57 dst_sel:DWORD dst_unused:UNUSED_PAD src0_sel:DWORD src1_sel:WORD_1
	v_add_f16_e32 v5, v5, v9
	v_add_f16_e32 v52, v52, v59
	v_mul_f16_sdwa v29, v29, v62 dst_sel:DWORD dst_unused:UNUSED_PAD src0_sel:DWORD src1_sel:WORD_1
	v_mul_f16_sdwa v26, v26, v55 dst_sel:DWORD dst_unused:UNUSED_PAD src0_sel:DWORD src1_sel:WORD_1
	v_fma_f16 v27, v41, v57, -v27
	v_mul_f16_sdwa v25, v25, v58 dst_sel:DWORD dst_unused:UNUSED_PAD src0_sel:DWORD src1_sel:WORD_1
	v_mul_f16_sdwa v28, v28, v61 dst_sel:DWORD dst_unused:UNUSED_PAD src0_sel:DWORD src1_sel:WORD_1
	;; [unrolled: 1-line block ×3, first 2 shown]
	v_add_f16_e32 v9, v48, v49
	v_add_f16_e32 v57, v5, v52
	;; [unrolled: 1-line block ×3, first 2 shown]
	v_sub_f16_e32 v68, v50, v66
	v_sub_f16_e32 v53, v32, v38
	v_add_f16_e32 v32, v38, v32
	v_sub_f16_e32 v38, v46, v64
	v_add_f16_e32 v46, v66, v50
	v_sub_f16_e32 v50, v48, v49
	v_fma_f16 v29, v43, v62, -v29
	v_fma_f16 v26, v34, v55, -v26
	;; [unrolled: 1-line block ×5, first 2 shown]
	v_sub_f16_e32 v48, v5, v9
	v_sub_f16_e32 v56, v9, v52
	v_add_f16_e32 v9, v9, v57
	v_add_f16_e32 v36, v25, v27
	;; [unrolled: 1-line block ×4, first 2 shown]
	v_sub_f16_e32 v23, v26, v29
	v_sub_f16_e32 v25, v25, v27
	;; [unrolled: 1-line block ×3, first 2 shown]
	v_add_f16_e32 v34, v26, v29
	v_sub_f16_e32 v26, v23, v25
	v_sub_f16_e32 v27, v25, v24
	v_add_f16_e32 v25, v25, v24
	v_add_f16_e32 v55, v34, v35
	;; [unrolled: 1-line block ×3, first 2 shown]
	v_sub_f16_e32 v23, v24, v23
	v_sub_f16_e32 v41, v34, v36
	;; [unrolled: 1-line block ×3, first 2 shown]
	v_add_f16_e32 v36, v36, v55
	v_mul_f16_e32 v24, 0xbb00, v23
	v_sub_f16_e32 v51, v47, v50
	v_sub_f16_e32 v63, v50, v60
	v_add_f16_e32 v50, v50, v60
	v_mul_f16_e32 v42, 0x2b26, v42
	v_add_f16_e32 v31, v31, v36
	v_mul_f16_e32 v27, 0x3846, v27
	v_sub_f16_e32 v34, v35, v34
	v_fma_f16 v24, v26, s11, -v24
	v_mul_f16_e32 v63, 0x3846, v63
	v_add_f16_e32 v50, v47, v50
	v_mul_f16_e32 v43, 0x3a52, v41
	v_fma_f16 v36, v36, s6, v31
	v_fma_f16 v28, v26, s5, v27
	v_sub_f16_e32 v47, v60, v47
	v_fma_f16 v26, v25, s4, v24
	v_fma_f16 v24, v34, s13, -v42
	v_fma_f16 v41, v41, s16, v42
	v_fma_f16 v35, v34, s12, -v43
	v_add_f16_e32 v34, v24, v36
	v_fma_f16 v24, v47, s10, -v63
	v_add_f16_e32 v41, v41, v36
	v_add_f16_e32 v35, v35, v36
	v_fma_f16 v36, v50, s4, v24
	v_mul_hi_u32 v24, v7, s17
	v_mul_f16_e32 v56, 0x2b26, v56
	v_fma_f16 v23, v23, s10, -v27
	v_mul_f16_e32 v49, 0x3a52, v48
	v_fma_f16 v48, v48, s16, v56
	v_fma_f16 v28, v25, s4, v28
	;; [unrolled: 1-line block ×3, first 2 shown]
	v_lshrrev_b32_e32 v23, 5, v24
	s_movk_i32 s16, 0x90
	v_mul_lo_u32 v23, v23, s16
	v_sub_f16_e32 v5, v52, v5
	v_fma_f16 v9, v9, s6, v57
	v_fma_f16 v49, v5, s12, -v49
	v_sub_u32_e32 v27, v7, v23
	v_mad_u64_u32 v[23:24], s[18:19], s2, v27, 0
	v_fma_f16 v5, v5, s13, -v56
	v_add_f16_e32 v5, v5, v9
	v_fma_f16 v64, v51, s5, v63
	v_add_f16_e32 v48, v48, v9
	v_add_f16_e32 v49, v49, v9
	v_sub_f16_e32 v42, v34, v36
	v_add_f16_e32 v9, v25, v5
	v_add_f16_e32 v34, v36, v34
	v_sub_f16_e32 v36, v5, v25
	v_mov_b32_e32 v5, v24
	v_fma_f16 v64, v50, s4, v64
	v_mad_u64_u32 v[24:25], s[18:19], s3, v27, v[5:6]
	v_add_f16_e32 v55, v64, v41
	v_sub_f16_e32 v29, v48, v28
	v_mul_f16_e32 v58, 0xbb00, v47
	v_sub_f16_e32 v52, v49, v26
	v_add_f16_e32 v47, v26, v49
	v_sub_f16_e32 v25, v41, v64
	v_add_f16_e32 v26, v28, v48
	v_mov_b32_e32 v5, s15
	v_add_co_u32_e32 v28, vcc, s14, v3
	v_add_u32_e32 v41, 0x90, v27
	v_addc_co_u32_e32 v5, vcc, v5, v4, vcc
	v_mad_u64_u32 v[3:4], s[14:15], s2, v41, 0
	v_add_co_u32_e32 v1, vcc, v28, v1
	v_lshlrev_b64 v[23:24], 2, v[23:24]
	v_addc_co_u32_e32 v2, vcc, v5, v2, vcc
	v_mad_u64_u32 v[4:5], s[14:15], s3, v41, v[4:5]
	v_add_co_u32_e32 v23, vcc, v1, v23
	v_addc_co_u32_e32 v24, vcc, v2, v24, vcc
	v_pack_b32_f16 v5, v57, v31
	v_add_u32_e32 v28, 0x120, v27
	global_store_dword v[23:24], v5, off
	v_mad_u64_u32 v[23:24], s[14:15], s2, v28, 0
	v_pack_b32_f16 v31, v26, v25
	v_lshlrev_b64 v[3:4], 2, v[3:4]
	v_mov_b32_e32 v5, v24
	v_mad_u64_u32 v[24:25], s[14:15], s3, v28, v[5:6]
	v_add_u32_e32 v28, 0x1b0, v27
	v_mad_u64_u32 v[25:26], s[14:15], s2, v28, 0
	v_add_co_u32_e32 v3, vcc, v1, v3
	v_addc_co_u32_e32 v4, vcc, v2, v4, vcc
	v_mov_b32_e32 v5, v26
	global_store_dword v[3:4], v31, off
	v_lshlrev_b64 v[3:4], 2, v[23:24]
	v_mad_u64_u32 v[23:24], s[14:15], s3, v28, v[5:6]
	v_fma_f16 v51, v51, s11, -v58
	v_fma_f16 v51, v50, s4, v51
	v_add_f16_e32 v43, v51, v35
	v_sub_f16_e32 v35, v35, v51
	v_add_co_u32_e32 v3, vcc, v1, v3
	v_addc_co_u32_e32 v4, vcc, v2, v4, vcc
	v_pack_b32_f16 v5, v47, v35
	v_mov_b32_e32 v26, v23
	global_store_dword v[3:4], v5, off
	v_lshlrev_b64 v[3:4], 2, v[25:26]
	v_add_u32_e32 v25, 0x240, v27
	v_mad_u64_u32 v[23:24], s[14:15], s2, v25, 0
	v_add_u32_e32 v31, 0x2d0, v27
	v_add_co_u32_e32 v3, vcc, v1, v3
	v_mov_b32_e32 v5, v24
	v_mad_u64_u32 v[24:25], s[14:15], s3, v25, v[5:6]
	v_mad_u64_u32 v[25:26], s[14:15], s2, v31, 0
	v_addc_co_u32_e32 v4, vcc, v2, v4, vcc
	v_pack_b32_f16 v28, v36, v34
	global_store_dword v[3:4], v28, off
	v_lshlrev_b64 v[3:4], 2, v[23:24]
	v_mov_b32_e32 v5, v26
	v_add_co_u32_e32 v3, vcc, v1, v3
	v_mad_u64_u32 v[23:24], s[14:15], s3, v31, v[5:6]
	v_addc_co_u32_e32 v4, vcc, v2, v4, vcc
	v_pack_b32_f16 v5, v9, v42
	v_add_u32_e32 v9, 56, v7
	global_store_dword v[3:4], v5, off
	v_mul_hi_u32 v5, v9, s17
	v_mov_b32_e32 v26, v23
	v_lshlrev_b64 v[3:4], 2, v[25:26]
	v_add_u32_e32 v27, 0x360, v27
	v_lshrrev_b32_e32 v25, 5, v5
	v_mul_lo_u32 v26, v25, s16
	v_mad_u64_u32 v[23:24], s[14:15], s2, v27, 0
	s_movk_i32 s14, 0x3f0
	v_sub_u32_e32 v9, v9, v26
	v_mad_u64_u32 v[25:26], s[14:15], v25, s14, v[9:10]
	v_mov_b32_e32 v5, v24
	v_mad_u64_u32 v[26:27], s[14:15], s3, v27, v[5:6]
	v_mad_u64_u32 v[27:28], s[14:15], s2, v25, 0
	v_add_co_u32_e32 v3, vcc, v1, v3
	v_addc_co_u32_e32 v4, vcc, v2, v4, vcc
	v_pack_b32_f16 v31, v52, v43
	v_mov_b32_e32 v24, v26
	v_mov_b32_e32 v5, v28
	global_store_dword v[3:4], v31, off
	v_lshlrev_b64 v[3:4], 2, v[23:24]
	v_mad_u64_u32 v[23:24], s[14:15], s3, v25, v[5:6]
	v_add_u32_e32 v9, 0x90, v25
	v_add_co_u32_e32 v3, vcc, v1, v3
	v_mov_b32_e32 v28, v23
	v_mad_u64_u32 v[23:24], s[14:15], s2, v9, 0
	v_addc_co_u32_e32 v4, vcc, v2, v4, vcc
	v_pack_b32_f16 v5, v29, v55
	global_store_dword v[3:4], v5, off
	v_mov_b32_e32 v5, v24
	v_lshlrev_b64 v[3:4], 2, v[27:28]
	v_mad_u64_u32 v[26:27], s[14:15], s3, v9, v[5:6]
	v_add_u32_e32 v9, 0x120, v25
	v_mad_u64_u32 v[27:28], s[14:15], s2, v9, 0
	v_add_co_u32_e32 v3, vcc, v1, v3
	v_addc_co_u32_e32 v4, vcc, v2, v4, vcc
	v_pack_b32_f16 v29, v30, v44
	v_mov_b32_e32 v24, v26
	v_mov_b32_e32 v5, v28
	global_store_dword v[3:4], v29, off
	v_lshlrev_b64 v[3:4], 2, v[23:24]
	v_mad_u64_u32 v[23:24], s[14:15], s3, v9, v[5:6]
	v_add_u32_e32 v9, 0x1b0, v25
	v_add_co_u32_e32 v3, vcc, v1, v3
	v_mov_b32_e32 v28, v23
	v_mad_u64_u32 v[23:24], s[14:15], s2, v9, 0
	v_addc_co_u32_e32 v4, vcc, v2, v4, vcc
	v_pack_b32_f16 v5, v46, v38
	global_store_dword v[3:4], v5, off
	v_mov_b32_e32 v5, v24
	v_lshlrev_b64 v[3:4], 2, v[27:28]
	v_mad_u64_u32 v[26:27], s[14:15], s3, v9, v[5:6]
	v_add_u32_e32 v9, 0x240, v25
	;; [unrolled: 20-line block ×3, first 2 shown]
	v_mad_u64_u32 v[27:28], s[14:15], s2, v9, 0
	v_add_co_u32_e32 v3, vcc, v1, v3
	v_addc_co_u32_e32 v4, vcc, v2, v4, vcc
	v_pack_b32_f16 v29, v37, v45
	v_mov_b32_e32 v24, v26
	v_mov_b32_e32 v5, v28
	global_store_dword v[3:4], v29, off
	v_lshlrev_b64 v[3:4], 2, v[23:24]
	v_mad_u64_u32 v[23:24], s[14:15], s3, v9, v[5:6]
	v_add_co_u32_e32 v3, vcc, v1, v3
	v_addc_co_u32_e32 v4, vcc, v2, v4, vcc
	v_pack_b32_f16 v5, v53, v54
	v_mov_b32_e32 v28, v23
	global_store_dword v[3:4], v5, off
	v_lshlrev_b64 v[3:4], 2, v[27:28]
	v_pack_b32_f16 v5, v68, v67
	v_add_co_u32_e32 v3, vcc, v1, v3
	v_addc_co_u32_e32 v4, vcc, v2, v4, vcc
	global_store_dword v[3:4], v5, off
	v_add_u32_e32 v3, 0x70, v7
	v_cmp_gt_u32_e32 vcc, s16, v3
	s_and_b64 exec, exec, vcc
	s_cbranch_execz .LBB0_20
; %bb.19:
	v_subrev_u32_e32 v4, 32, v7
	v_cndmask_b32_e64 v4, v4, v8, s[0:1]
	v_mul_i32_i24_e32 v5, 6, v4
	v_lshlrev_b64 v[4:5], 2, v[5:6]
	v_mov_b32_e32 v6, s9
	v_add_co_u32_e32 v4, vcc, s8, v4
	v_addc_co_u32_e32 v5, vcc, v6, v5, vcc
	global_load_dwordx4 v[23:26], v[4:5], off offset:568
	global_load_dwordx2 v[8:9], v[4:5], off offset:584
	s_waitcnt vmcnt(1)
	v_mul_f16_sdwa v4, v19, v23 dst_sel:DWORD dst_unused:UNUSED_PAD src0_sel:DWORD src1_sel:WORD_1
	v_mul_f16_sdwa v5, v15, v23 dst_sel:DWORD dst_unused:UNUSED_PAD src0_sel:DWORD src1_sel:WORD_1
	;; [unrolled: 1-line block ×4, first 2 shown]
	s_waitcnt vmcnt(0)
	v_mul_f16_sdwa v32, v22, v8 dst_sel:DWORD dst_unused:UNUSED_PAD src0_sel:DWORD src1_sel:WORD_1
	v_mul_f16_sdwa v33, v16, v8 dst_sel:DWORD dst_unused:UNUSED_PAD src0_sel:DWORD src1_sel:WORD_1
	;; [unrolled: 1-line block ×8, first 2 shown]
	v_fma_f16 v4, v15, v23, v4
	v_fma_f16 v5, v19, v23, -v5
	v_fma_f16 v6, v11, v24, v6
	v_fma_f16 v11, v18, v24, -v27
	;; [unrolled: 2-line block ×6, first 2 shown]
	v_add_f16_e32 v18, v4, v14
	v_add_f16_e32 v19, v5, v9
	v_sub_f16_e32 v4, v4, v14
	v_sub_f16_e32 v5, v5, v9
	v_add_f16_e32 v9, v6, v16
	v_add_f16_e32 v14, v11, v8
	v_sub_f16_e32 v6, v6, v16
	v_sub_f16_e32 v8, v11, v8
	;; [unrolled: 4-line block ×4, first 2 shown]
	v_sub_f16_e32 v18, v18, v11
	v_sub_f16_e32 v19, v19, v16
	;; [unrolled: 1-line block ×4, first 2 shown]
	v_add_f16_e32 v22, v12, v6
	v_add_f16_e32 v23, v0, v8
	v_sub_f16_e32 v24, v12, v6
	v_sub_f16_e32 v25, v0, v8
	;; [unrolled: 1-line block ×4, first 2 shown]
	v_add_f16_e32 v11, v11, v13
	v_add_f16_e32 v13, v16, v15
	v_sub_f16_e32 v12, v4, v12
	v_sub_f16_e32 v0, v5, v0
	v_add_f16_e32 v4, v22, v4
	v_add_f16_e32 v5, v23, v5
	v_mul_f16_e32 v15, 0x3a52, v18
	v_mul_f16_e32 v16, 0x3a52, v19
	;; [unrolled: 1-line block ×8, first 2 shown]
	v_add_f16_e32 v10, v10, v11
	v_add_f16_e32 v17, v17, v13
	v_fma_f16 v9, v9, s7, v15
	v_fma_f16 v14, v14, s7, v16
	v_fma_f16 v18, v20, s13, -v18
	v_fma_f16 v19, v21, s13, -v19
	;; [unrolled: 1-line block ×4, first 2 shown]
	v_fma_f16 v20, v12, s5, v22
	v_fma_f16 v21, v0, s5, v23
	v_fma_f16 v6, v6, s10, -v22
	v_fma_f16 v8, v8, s10, -v23
	;; [unrolled: 1-line block ×4, first 2 shown]
	v_fma_f16 v11, v11, s6, v10
	v_fma_f16 v13, v13, s6, v17
	v_add_f16_e32 v9, v9, v11
	v_add_f16_e32 v14, v14, v13
	;; [unrolled: 1-line block ×6, first 2 shown]
	v_fma_f16 v15, v4, s4, v20
	v_fma_f16 v16, v5, s4, v21
	;; [unrolled: 1-line block ×6, first 2 shown]
	v_mad_u64_u32 v[4:5], s[0:1], s2, v3, 0
	v_add_f16_e32 v22, v0, v11
	v_sub_f16_e32 v11, v11, v0
	v_mov_b32_e32 v0, v5
	v_add_f16_e32 v25, v6, v19
	v_sub_f16_e32 v19, v19, v6
	v_mad_u64_u32 v[5:6], s[0:1], s3, v3, v[0:1]
	v_sub_f16_e32 v24, v18, v8
	v_add_f16_e32 v18, v8, v18
	v_add_u32_e32 v8, 0x100, v7
	v_lshlrev_b64 v[3:4], 2, v[4:5]
	v_mad_u64_u32 v[5:6], s[0:1], s2, v8, 0
	v_add_f16_e32 v20, v16, v9
	v_sub_f16_e32 v23, v13, v12
	v_mov_b32_e32 v0, v6
	v_add_f16_e32 v12, v12, v13
	v_sub_f16_e32 v13, v9, v16
	v_mad_u64_u32 v[8:9], s[0:1], s3, v8, v[0:1]
	v_add_u32_e32 v16, 0x190, v7
	v_sub_f16_e32 v21, v14, v15
	v_add_f16_e32 v14, v15, v14
	v_pack_b32_f16 v15, v10, v17
	v_mad_u64_u32 v[9:10], s[0:1], s2, v16, 0
	v_add_co_u32_e32 v3, vcc, v1, v3
	v_addc_co_u32_e32 v4, vcc, v2, v4, vcc
	v_mov_b32_e32 v6, v8
	v_mov_b32_e32 v0, v10
	global_store_dword v[3:4], v15, off
	v_lshlrev_b64 v[3:4], 2, v[5:6]
	v_mad_u64_u32 v[5:6], s[0:1], s3, v16, v[0:1]
	v_add_u32_e32 v8, 0x220, v7
	v_add_co_u32_e32 v3, vcc, v1, v3
	v_mov_b32_e32 v10, v5
	v_mad_u64_u32 v[5:6], s[0:1], s2, v8, 0
	v_addc_co_u32_e32 v4, vcc, v2, v4, vcc
	v_pack_b32_f16 v0, v20, v21
	global_store_dword v[3:4], v0, off
	v_mov_b32_e32 v0, v6
	v_lshlrev_b64 v[3:4], 2, v[9:10]
	v_mad_u64_u32 v[8:9], s[0:1], s3, v8, v[0:1]
	v_add_u32_e32 v16, 0x2b0, v7
	v_mad_u64_u32 v[9:10], s[0:1], s2, v16, 0
	v_add_co_u32_e32 v3, vcc, v1, v3
	v_addc_co_u32_e32 v4, vcc, v2, v4, vcc
	v_pack_b32_f16 v15, v22, v23
	v_mov_b32_e32 v6, v8
	v_mov_b32_e32 v0, v10
	global_store_dword v[3:4], v15, off
	v_lshlrev_b64 v[3:4], 2, v[5:6]
	v_mad_u64_u32 v[5:6], s[0:1], s3, v16, v[0:1]
	v_add_u32_e32 v8, 0x340, v7
	v_add_co_u32_e32 v3, vcc, v1, v3
	v_mov_b32_e32 v10, v5
	v_mad_u64_u32 v[5:6], s[0:1], s2, v8, 0
	v_addc_co_u32_e32 v4, vcc, v2, v4, vcc
	v_pack_b32_f16 v0, v24, v25
	global_store_dword v[3:4], v0, off
	v_mov_b32_e32 v0, v6
	v_lshlrev_b64 v[3:4], 2, v[9:10]
	v_mad_u64_u32 v[8:9], s[0:1], s3, v8, v[0:1]
	v_add_u32_e32 v7, 0x3d0, v7
	v_mad_u64_u32 v[9:10], s[0:1], s2, v7, 0
	v_add_co_u32_e32 v3, vcc, v1, v3
	v_addc_co_u32_e32 v4, vcc, v2, v4, vcc
	v_pack_b32_f16 v15, v18, v19
	v_mov_b32_e32 v6, v8
	v_mov_b32_e32 v0, v10
	global_store_dword v[3:4], v15, off
	v_lshlrev_b64 v[3:4], 2, v[5:6]
	v_mad_u64_u32 v[5:6], s[0:1], s3, v7, v[0:1]
	v_add_co_u32_e32 v3, vcc, v1, v3
	v_addc_co_u32_e32 v4, vcc, v2, v4, vcc
	v_pack_b32_f16 v0, v11, v12
	v_mov_b32_e32 v10, v5
	global_store_dword v[3:4], v0, off
	v_lshlrev_b64 v[3:4], 2, v[9:10]
	v_add_co_u32_e32 v0, vcc, v1, v3
	v_addc_co_u32_e32 v1, vcc, v2, v4, vcc
	v_pack_b32_f16 v2, v13, v14
	global_store_dword v[0:1], v2, off
.LBB0_20:
	s_endpgm
	.section	.rodata,"a",@progbits
	.p2align	6, 0x0
	.amdhsa_kernel fft_rtc_back_len1008_factors_2_2_2_2_3_3_7_wgs_56_tpt_56_halfLds_half_op_CI_CI_sbrr_dirReg
		.amdhsa_group_segment_fixed_size 0
		.amdhsa_private_segment_fixed_size 0
		.amdhsa_kernarg_size 104
		.amdhsa_user_sgpr_count 6
		.amdhsa_user_sgpr_private_segment_buffer 1
		.amdhsa_user_sgpr_dispatch_ptr 0
		.amdhsa_user_sgpr_queue_ptr 0
		.amdhsa_user_sgpr_kernarg_segment_ptr 1
		.amdhsa_user_sgpr_dispatch_id 0
		.amdhsa_user_sgpr_flat_scratch_init 0
		.amdhsa_user_sgpr_private_segment_size 0
		.amdhsa_uses_dynamic_stack 0
		.amdhsa_system_sgpr_private_segment_wavefront_offset 0
		.amdhsa_system_sgpr_workgroup_id_x 1
		.amdhsa_system_sgpr_workgroup_id_y 0
		.amdhsa_system_sgpr_workgroup_id_z 0
		.amdhsa_system_sgpr_workgroup_info 0
		.amdhsa_system_vgpr_workitem_id 0
		.amdhsa_next_free_vgpr 80
		.amdhsa_next_free_sgpr 32
		.amdhsa_reserve_vcc 1
		.amdhsa_reserve_flat_scratch 0
		.amdhsa_float_round_mode_32 0
		.amdhsa_float_round_mode_16_64 0
		.amdhsa_float_denorm_mode_32 3
		.amdhsa_float_denorm_mode_16_64 3
		.amdhsa_dx10_clamp 1
		.amdhsa_ieee_mode 1
		.amdhsa_fp16_overflow 0
		.amdhsa_exception_fp_ieee_invalid_op 0
		.amdhsa_exception_fp_denorm_src 0
		.amdhsa_exception_fp_ieee_div_zero 0
		.amdhsa_exception_fp_ieee_overflow 0
		.amdhsa_exception_fp_ieee_underflow 0
		.amdhsa_exception_fp_ieee_inexact 0
		.amdhsa_exception_int_div_zero 0
	.end_amdhsa_kernel
	.text
.Lfunc_end0:
	.size	fft_rtc_back_len1008_factors_2_2_2_2_3_3_7_wgs_56_tpt_56_halfLds_half_op_CI_CI_sbrr_dirReg, .Lfunc_end0-fft_rtc_back_len1008_factors_2_2_2_2_3_3_7_wgs_56_tpt_56_halfLds_half_op_CI_CI_sbrr_dirReg
                                        ; -- End function
	.section	.AMDGPU.csdata,"",@progbits
; Kernel info:
; codeLenInByte = 14888
; NumSgprs: 36
; NumVgprs: 80
; ScratchSize: 0
; MemoryBound: 0
; FloatMode: 240
; IeeeMode: 1
; LDSByteSize: 0 bytes/workgroup (compile time only)
; SGPRBlocks: 4
; VGPRBlocks: 19
; NumSGPRsForWavesPerEU: 36
; NumVGPRsForWavesPerEU: 80
; Occupancy: 3
; WaveLimiterHint : 1
; COMPUTE_PGM_RSRC2:SCRATCH_EN: 0
; COMPUTE_PGM_RSRC2:USER_SGPR: 6
; COMPUTE_PGM_RSRC2:TRAP_HANDLER: 0
; COMPUTE_PGM_RSRC2:TGID_X_EN: 1
; COMPUTE_PGM_RSRC2:TGID_Y_EN: 0
; COMPUTE_PGM_RSRC2:TGID_Z_EN: 0
; COMPUTE_PGM_RSRC2:TIDIG_COMP_CNT: 0
	.type	__hip_cuid_3eaed54d65f1f8cb,@object ; @__hip_cuid_3eaed54d65f1f8cb
	.section	.bss,"aw",@nobits
	.globl	__hip_cuid_3eaed54d65f1f8cb
__hip_cuid_3eaed54d65f1f8cb:
	.byte	0                               ; 0x0
	.size	__hip_cuid_3eaed54d65f1f8cb, 1

	.ident	"AMD clang version 19.0.0git (https://github.com/RadeonOpenCompute/llvm-project roc-6.4.0 25133 c7fe45cf4b819c5991fe208aaa96edf142730f1d)"
	.section	".note.GNU-stack","",@progbits
	.addrsig
	.addrsig_sym __hip_cuid_3eaed54d65f1f8cb
	.amdgpu_metadata
---
amdhsa.kernels:
  - .args:
      - .actual_access:  read_only
        .address_space:  global
        .offset:         0
        .size:           8
        .value_kind:     global_buffer
      - .offset:         8
        .size:           8
        .value_kind:     by_value
      - .actual_access:  read_only
        .address_space:  global
        .offset:         16
        .size:           8
        .value_kind:     global_buffer
      - .actual_access:  read_only
        .address_space:  global
        .offset:         24
        .size:           8
        .value_kind:     global_buffer
      - .actual_access:  read_only
        .address_space:  global
        .offset:         32
        .size:           8
        .value_kind:     global_buffer
      - .offset:         40
        .size:           8
        .value_kind:     by_value
      - .actual_access:  read_only
        .address_space:  global
        .offset:         48
        .size:           8
        .value_kind:     global_buffer
      - .actual_access:  read_only
        .address_space:  global
        .offset:         56
        .size:           8
        .value_kind:     global_buffer
      - .offset:         64
        .size:           4
        .value_kind:     by_value
      - .actual_access:  read_only
        .address_space:  global
        .offset:         72
        .size:           8
        .value_kind:     global_buffer
      - .actual_access:  read_only
        .address_space:  global
        .offset:         80
        .size:           8
        .value_kind:     global_buffer
      - .actual_access:  read_only
        .address_space:  global
        .offset:         88
        .size:           8
        .value_kind:     global_buffer
      - .actual_access:  write_only
        .address_space:  global
        .offset:         96
        .size:           8
        .value_kind:     global_buffer
    .group_segment_fixed_size: 0
    .kernarg_segment_align: 8
    .kernarg_segment_size: 104
    .language:       OpenCL C
    .language_version:
      - 2
      - 0
    .max_flat_workgroup_size: 56
    .name:           fft_rtc_back_len1008_factors_2_2_2_2_3_3_7_wgs_56_tpt_56_halfLds_half_op_CI_CI_sbrr_dirReg
    .private_segment_fixed_size: 0
    .sgpr_count:     36
    .sgpr_spill_count: 0
    .symbol:         fft_rtc_back_len1008_factors_2_2_2_2_3_3_7_wgs_56_tpt_56_halfLds_half_op_CI_CI_sbrr_dirReg.kd
    .uniform_work_group_size: 1
    .uses_dynamic_stack: false
    .vgpr_count:     80
    .vgpr_spill_count: 0
    .wavefront_size: 64
amdhsa.target:   amdgcn-amd-amdhsa--gfx906
amdhsa.version:
  - 1
  - 2
...

	.end_amdgpu_metadata
